;; amdgpu-corpus repo=ROCm/rocFFT kind=compiled arch=gfx950 opt=O3
	.text
	.amdgcn_target "amdgcn-amd-amdhsa--gfx950"
	.amdhsa_code_object_version 6
	.protected	fft_rtc_back_len1782_factors_11_3_3_3_3_2_wgs_99_tpt_99_halfLds_sp_op_CI_CI_unitstride_sbrr_dirReg ; -- Begin function fft_rtc_back_len1782_factors_11_3_3_3_3_2_wgs_99_tpt_99_halfLds_sp_op_CI_CI_unitstride_sbrr_dirReg
	.globl	fft_rtc_back_len1782_factors_11_3_3_3_3_2_wgs_99_tpt_99_halfLds_sp_op_CI_CI_unitstride_sbrr_dirReg
	.p2align	8
	.type	fft_rtc_back_len1782_factors_11_3_3_3_3_2_wgs_99_tpt_99_halfLds_sp_op_CI_CI_unitstride_sbrr_dirReg,@function
fft_rtc_back_len1782_factors_11_3_3_3_3_2_wgs_99_tpt_99_halfLds_sp_op_CI_CI_unitstride_sbrr_dirReg: ; @fft_rtc_back_len1782_factors_11_3_3_3_3_2_wgs_99_tpt_99_halfLds_sp_op_CI_CI_unitstride_sbrr_dirReg
; %bb.0:
	s_load_dwordx4 s[4:7], s[0:1], 0x58
	s_load_dwordx4 s[8:11], s[0:1], 0x0
	;; [unrolled: 1-line block ×3, first 2 shown]
	v_mul_u32_u24_e32 v1, 0x296, v0
	v_add_u32_sdwa v8, s2, v1 dst_sel:DWORD dst_unused:UNUSED_PAD src0_sel:DWORD src1_sel:WORD_1
	v_mov_b32_e32 v4, 0
	s_waitcnt lgkmcnt(0)
	v_cmp_lt_u64_e64 s[2:3], s[10:11], 2
	v_mov_b32_e32 v9, v4
	s_and_b64 vcc, exec, s[2:3]
	v_mov_b64_e32 v[54:55], 0
	s_cbranch_vccnz .LBB0_8
; %bb.1:
	s_load_dwordx2 s[2:3], s[0:1], 0x10
	s_add_u32 s16, s14, 8
	s_addc_u32 s17, s15, 0
	s_add_u32 s18, s12, 8
	s_addc_u32 s19, s13, 0
	s_waitcnt lgkmcnt(0)
	s_add_u32 s20, s2, 8
	v_mov_b64_e32 v[54:55], 0
	s_addc_u32 s21, s3, 0
	s_mov_b64 s[22:23], 1
	v_mov_b64_e32 v[2:3], v[54:55]
.LBB0_2:                                ; =>This Inner Loop Header: Depth=1
	s_load_dwordx2 s[24:25], s[20:21], 0x0
                                        ; implicit-def: $vgpr6_vgpr7
	s_waitcnt lgkmcnt(0)
	v_or_b32_e32 v5, s25, v9
	v_cmp_ne_u64_e32 vcc, 0, v[4:5]
	s_and_saveexec_b64 s[2:3], vcc
	s_xor_b64 s[26:27], exec, s[2:3]
	s_cbranch_execz .LBB0_4
; %bb.3:                                ;   in Loop: Header=BB0_2 Depth=1
	v_cvt_f32_u32_e32 v1, s24
	v_cvt_f32_u32_e32 v5, s25
	s_sub_u32 s2, 0, s24
	s_subb_u32 s3, 0, s25
	v_fmac_f32_e32 v1, 0x4f800000, v5
	v_rcp_f32_e32 v1, v1
	s_nop 0
	v_mul_f32_e32 v1, 0x5f7ffffc, v1
	v_mul_f32_e32 v5, 0x2f800000, v1
	v_trunc_f32_e32 v5, v5
	v_fmac_f32_e32 v1, 0xcf800000, v5
	v_cvt_u32_f32_e32 v5, v5
	v_cvt_u32_f32_e32 v1, v1
	v_mul_lo_u32 v6, s2, v5
	v_mul_hi_u32 v10, s2, v1
	v_mul_lo_u32 v7, s3, v1
	v_add_u32_e32 v10, v10, v6
	v_mul_lo_u32 v12, s2, v1
	v_add_u32_e32 v13, v10, v7
	v_mul_hi_u32 v6, v1, v12
	v_mul_hi_u32 v11, v1, v13
	v_mul_lo_u32 v10, v1, v13
	v_mov_b32_e32 v7, v4
	v_lshl_add_u64 v[6:7], v[6:7], 0, v[10:11]
	v_mul_hi_u32 v11, v5, v12
	v_mul_lo_u32 v12, v5, v12
	v_add_co_u32_e32 v6, vcc, v6, v12
	v_mul_hi_u32 v10, v5, v13
	s_nop 0
	v_addc_co_u32_e32 v6, vcc, v7, v11, vcc
	v_mov_b32_e32 v7, v4
	s_nop 0
	v_addc_co_u32_e32 v11, vcc, 0, v10, vcc
	v_mul_lo_u32 v10, v5, v13
	v_lshl_add_u64 v[6:7], v[6:7], 0, v[10:11]
	v_add_co_u32_e32 v1, vcc, v1, v6
	v_mul_lo_u32 v10, s2, v1
	s_nop 0
	v_addc_co_u32_e32 v5, vcc, v5, v7, vcc
	v_mul_lo_u32 v6, s2, v5
	v_mul_hi_u32 v7, s2, v1
	v_add_u32_e32 v6, v7, v6
	v_mul_lo_u32 v7, s3, v1
	v_add_u32_e32 v12, v6, v7
	v_mul_hi_u32 v14, v5, v10
	v_mul_lo_u32 v15, v5, v10
	v_mul_hi_u32 v7, v1, v12
	v_mul_lo_u32 v6, v1, v12
	v_mul_hi_u32 v10, v1, v10
	v_mov_b32_e32 v11, v4
	v_lshl_add_u64 v[6:7], v[10:11], 0, v[6:7]
	v_add_co_u32_e32 v6, vcc, v6, v15
	v_mul_hi_u32 v13, v5, v12
	s_nop 0
	v_addc_co_u32_e32 v6, vcc, v7, v14, vcc
	v_mul_lo_u32 v10, v5, v12
	s_nop 0
	v_addc_co_u32_e32 v11, vcc, 0, v13, vcc
	v_mov_b32_e32 v7, v4
	v_lshl_add_u64 v[6:7], v[6:7], 0, v[10:11]
	v_add_co_u32_e32 v1, vcc, v1, v6
	v_mul_hi_u32 v10, v8, v1
	s_nop 0
	v_addc_co_u32_e32 v5, vcc, v5, v7, vcc
	v_mad_u64_u32 v[6:7], s[2:3], v8, v5, 0
	v_mov_b32_e32 v11, v4
	v_lshl_add_u64 v[6:7], v[10:11], 0, v[6:7]
	v_mad_u64_u32 v[12:13], s[2:3], v9, v1, 0
	v_add_co_u32_e32 v1, vcc, v6, v12
	v_mad_u64_u32 v[10:11], s[2:3], v9, v5, 0
	s_nop 0
	v_addc_co_u32_e32 v6, vcc, v7, v13, vcc
	v_mov_b32_e32 v7, v4
	s_nop 0
	v_addc_co_u32_e32 v11, vcc, 0, v11, vcc
	v_lshl_add_u64 v[6:7], v[6:7], 0, v[10:11]
	v_mul_lo_u32 v1, s25, v6
	v_mul_lo_u32 v5, s24, v7
	v_mad_u64_u32 v[10:11], s[2:3], s24, v6, 0
	v_add3_u32 v1, v11, v5, v1
	v_sub_u32_e32 v5, v9, v1
	v_mov_b32_e32 v11, s25
	v_sub_co_u32_e32 v14, vcc, v8, v10
	v_lshl_add_u64 v[12:13], v[6:7], 0, 1
	s_nop 0
	v_subb_co_u32_e64 v5, s[2:3], v5, v11, vcc
	v_subrev_co_u32_e64 v10, s[2:3], s24, v14
	v_subb_co_u32_e32 v1, vcc, v9, v1, vcc
	s_nop 0
	v_subbrev_co_u32_e64 v5, s[2:3], 0, v5, s[2:3]
	v_cmp_le_u32_e64 s[2:3], s25, v5
	v_cmp_le_u32_e32 vcc, s25, v1
	s_nop 0
	v_cndmask_b32_e64 v11, 0, -1, s[2:3]
	v_cmp_le_u32_e64 s[2:3], s24, v10
	s_nop 1
	v_cndmask_b32_e64 v10, 0, -1, s[2:3]
	v_cmp_eq_u32_e64 s[2:3], s25, v5
	s_nop 1
	v_cndmask_b32_e64 v5, v11, v10, s[2:3]
	v_lshl_add_u64 v[10:11], v[6:7], 0, 2
	v_cmp_ne_u32_e64 s[2:3], 0, v5
	s_nop 1
	v_cndmask_b32_e64 v5, v13, v11, s[2:3]
	v_cndmask_b32_e64 v11, 0, -1, vcc
	v_cmp_le_u32_e32 vcc, s24, v14
	s_nop 1
	v_cndmask_b32_e64 v13, 0, -1, vcc
	v_cmp_eq_u32_e32 vcc, s25, v1
	s_nop 1
	v_cndmask_b32_e32 v1, v11, v13, vcc
	v_cmp_ne_u32_e32 vcc, 0, v1
	v_cndmask_b32_e64 v1, v12, v10, s[2:3]
	s_nop 0
	v_cndmask_b32_e32 v7, v7, v5, vcc
	v_cndmask_b32_e32 v6, v6, v1, vcc
.LBB0_4:                                ;   in Loop: Header=BB0_2 Depth=1
	s_andn2_saveexec_b64 s[2:3], s[26:27]
	s_cbranch_execz .LBB0_6
; %bb.5:                                ;   in Loop: Header=BB0_2 Depth=1
	v_cvt_f32_u32_e32 v1, s24
	s_sub_i32 s26, 0, s24
	v_rcp_iflag_f32_e32 v1, v1
	s_nop 0
	v_mul_f32_e32 v1, 0x4f7ffffe, v1
	v_cvt_u32_f32_e32 v1, v1
	v_mul_lo_u32 v5, s26, v1
	v_mul_hi_u32 v5, v1, v5
	v_add_u32_e32 v1, v1, v5
	v_mul_hi_u32 v1, v8, v1
	v_mul_lo_u32 v5, v1, s24
	v_sub_u32_e32 v5, v8, v5
	v_add_u32_e32 v6, 1, v1
	v_subrev_u32_e32 v7, s24, v5
	v_cmp_le_u32_e32 vcc, s24, v5
	s_nop 1
	v_cndmask_b32_e32 v5, v5, v7, vcc
	v_cndmask_b32_e32 v1, v1, v6, vcc
	v_add_u32_e32 v6, 1, v1
	v_cmp_le_u32_e32 vcc, s24, v5
	v_mov_b32_e32 v7, v4
	s_nop 0
	v_cndmask_b32_e32 v6, v1, v6, vcc
.LBB0_6:                                ;   in Loop: Header=BB0_2 Depth=1
	s_or_b64 exec, exec, s[2:3]
	v_mad_u64_u32 v[10:11], s[2:3], v6, s24, 0
	s_load_dwordx2 s[2:3], s[18:19], 0x0
	v_mul_lo_u32 v1, v7, s24
	v_mul_lo_u32 v5, v6, s25
	s_load_dwordx2 s[24:25], s[16:17], 0x0
	s_add_u32 s22, s22, 1
	v_add3_u32 v1, v11, v5, v1
	v_sub_co_u32_e32 v5, vcc, v8, v10
	s_addc_u32 s23, s23, 0
	s_nop 0
	v_subb_co_u32_e32 v1, vcc, v9, v1, vcc
	s_add_u32 s16, s16, 8
	s_waitcnt lgkmcnt(0)
	v_mul_lo_u32 v8, s2, v1
	v_mul_lo_u32 v9, s3, v5
	v_mad_u64_u32 v[54:55], s[2:3], s2, v5, v[54:55]
	s_addc_u32 s17, s17, 0
	v_add3_u32 v55, v9, v55, v8
	v_mul_lo_u32 v1, s24, v1
	v_mul_lo_u32 v8, s25, v5
	v_mad_u64_u32 v[2:3], s[2:3], s24, v5, v[2:3]
	s_add_u32 s18, s18, 8
	v_add3_u32 v3, v8, v3, v1
	s_addc_u32 s19, s19, 0
	v_mov_b64_e32 v[8:9], s[10:11]
	s_add_u32 s20, s20, 8
	v_cmp_ge_u64_e32 vcc, s[22:23], v[8:9]
	s_addc_u32 s21, s21, 0
	s_cbranch_vccnz .LBB0_9
; %bb.7:                                ;   in Loop: Header=BB0_2 Depth=1
	v_mov_b64_e32 v[8:9], v[6:7]
	s_branch .LBB0_2
.LBB0_8:
	v_mov_b64_e32 v[2:3], v[54:55]
	v_mov_b64_e32 v[6:7], v[8:9]
.LBB0_9:
	s_load_dwordx2 s[18:19], s[0:1], 0x28
	s_lshl_b64 s[16:17], s[10:11], 3
	s_add_u32 s2, s14, s16
	s_addc_u32 s3, s15, s17
                                        ; implicit-def: $sgpr14
                                        ; implicit-def: $vgpr4
	s_waitcnt lgkmcnt(0)
	v_cmp_gt_u64_e64 s[0:1], s[18:19], v[6:7]
	v_cmp_le_u64_e32 vcc, s[18:19], v[6:7]
	s_and_saveexec_b64 s[10:11], vcc
	s_xor_b64 s[10:11], exec, s[10:11]
; %bb.10:
	s_mov_b32 s14, 0x295fad5
	v_mul_hi_u32 v1, v0, s14
	v_mul_u32_u24_e32 v1, 0x63, v1
	v_sub_u32_e32 v4, v0, v1
	s_mov_b32 s14, 0
                                        ; implicit-def: $vgpr0
                                        ; implicit-def: $vgpr54_vgpr55
; %bb.11:
	s_or_saveexec_b64 s[10:11], s[10:11]
	s_load_dwordx2 s[2:3], s[2:3], 0x0
	v_mov_b32_e32 v15, s14
	v_mov_b32_e32 v47, s14
                                        ; implicit-def: $vgpr16
                                        ; implicit-def: $vgpr1
                                        ; implicit-def: $vgpr48
                                        ; implicit-def: $vgpr44
                                        ; implicit-def: $vgpr50
                                        ; implicit-def: $vgpr24
                                        ; implicit-def: $vgpr20
                                        ; implicit-def: $vgpr22
                                        ; implicit-def: $vgpr8
                                        ; implicit-def: $vgpr12
                                        ; implicit-def: $vgpr26
                                        ; implicit-def: $vgpr10
                                        ; implicit-def: $vgpr38
                                        ; implicit-def: $vgpr52
                                        ; implicit-def: $vgpr36
                                        ; implicit-def: $vgpr32
                                        ; implicit-def: $vgpr18
                                        ; implicit-def: $vgpr57
                                        ; implicit-def: $vgpr29
                                        ; implicit-def: $vgpr42
                                        ; implicit-def: $vgpr34
                                        ; implicit-def: $vgpr30
                                        ; implicit-def: $vgpr40
	s_xor_b64 exec, exec, s[10:11]
	s_cbranch_execz .LBB0_15
; %bb.12:
	s_add_u32 s12, s12, s16
	s_addc_u32 s13, s13, s17
	s_load_dwordx2 s[12:13], s[12:13], 0x0
	s_mov_b32 s14, 0x295fad5
	v_mov_b32_e32 v47, 0
	v_mov_b32_e32 v15, v47
                                        ; implicit-def: $vgpr19
                                        ; implicit-def: $vgpr11
                                        ; implicit-def: $vgpr27
                                        ; implicit-def: $vgpr13
                                        ; implicit-def: $vgpr23
                                        ; implicit-def: $vgpr21
                                        ; implicit-def: $vgpr24
                                        ; implicit-def: $vgpr50
                                        ; implicit-def: $vgpr17
	s_waitcnt lgkmcnt(0)
	v_mul_lo_u32 v1, s13, v6
	v_mul_lo_u32 v4, s12, v7
	v_mad_u64_u32 v[8:9], s[12:13], s12, v6, 0
	v_add3_u32 v9, v9, v4, v1
	v_mul_hi_u32 v1, v0, s14
	v_mul_u32_u24_e32 v1, 0x63, v1
	v_sub_u32_e32 v4, v0, v1
	v_lshl_add_u64 v[0:1], v[8:9], 3, s[4:5]
	v_lshl_add_u64 v[0:1], v[54:55], 3, v[0:1]
	v_lshlrev_b32_e32 v46, 3, v4
	v_lshl_add_u64 v[44:45], v[0:1], 0, v[46:47]
	s_movk_i32 s4, 0x1000
	v_add_co_u32_e32 v0, vcc, s4, v44
	s_movk_i32 s4, 0x2000
	s_nop 0
	v_addc_co_u32_e32 v1, vcc, 0, v45, vcc
	v_add_co_u32_e32 v8, vcc, s4, v44
	global_load_dwordx2 v[54:55], v[44:45], off
	global_load_dwordx2 v[28:29], v[44:45], off offset:1296
	global_load_dwordx2 v[42:43], v[44:45], off offset:2592
	global_load_dwordx2 v[38:39], v[44:45], off offset:3888
	v_addc_co_u32_e32 v9, vcc, 0, v45, vcc
	global_load_dwordx2 v[34:35], v[0:1], off offset:1088
	global_load_dwordx2 v[30:31], v[0:1], off offset:2384
	;; [unrolled: 1-line block ×4, first 2 shown]
	v_add_co_u32_e32 v0, vcc, 0x3000, v44
	s_nop 1
	v_addc_co_u32_e32 v1, vcc, 0, v45, vcc
	global_load_dwordx2 v[40:41], v[8:9], off offset:2176
	global_load_dwordx2 v[36:37], v[8:9], off offset:3472
	;; [unrolled: 1-line block ×3, first 2 shown]
	v_cmp_gt_u32_e32 vcc, 63, v4
                                        ; implicit-def: $vgpr9
                                        ; implicit-def: $vgpr0
	s_and_saveexec_b64 s[4:5], vcc
	s_cbranch_execz .LBB0_14
; %bb.13:
	v_add_co_u32_e32 v16, vcc, 0x1000, v44
	global_load_dwordx2 v[14:15], v[44:45], off offset:792
	global_load_dwordx2 v[18:19], v[44:45], off offset:2088
	v_addc_co_u32_e32 v17, vcc, 0, v45, vcc
	v_add_co_u32_e32 v46, vcc, 0x2000, v44
	s_nop 1
	v_addc_co_u32_e32 v47, vcc, 0, v45, vcc
	global_load_dwordx2 v[0:1], v[46:47], off offset:376
	global_load_dwordx2 v[8:9], v[46:47], off offset:1672
	;; [unrolled: 1-line block ×4, first 2 shown]
	v_add_co_u32_e32 v44, vcc, 0x3000, v44
	s_nop 1
	v_addc_co_u32_e32 v45, vcc, 0, v45, vcc
	global_load_dwordx2 v[12:13], v[46:47], off offset:2968
	global_load_dwordx2 v[10:11], v[44:45], off offset:168
	global_load_dwordx2 v[24:25], v[44:45], off offset:1464
	global_load_dwordx2 v[20:21], v[16:17], off offset:3176
	global_load_dwordx2 v[22:23], v[16:17], off offset:1880
	s_waitcnt vmcnt(10)
	v_mov_b32_e32 v47, v14
	s_waitcnt vmcnt(6)
	v_mov_b32_e32 v16, v51
	;; [unrolled: 2-line block ×3, first 2 shown]
.LBB0_14:
	s_or_b64 exec, exec, s[4:5]
	s_waitcnt vmcnt(7)
	v_mov_b32_e32 v48, v39
	s_waitcnt vmcnt(0)
	v_mov_b32_e32 v49, v57
	v_mov_b32_e32 v44, v53
	;; [unrolled: 1-line block ×6, first 2 shown]
.LBB0_15:
	s_or_b64 exec, exec, s[10:11]
	v_add_f32_e32 v5, v53, v57
	s_mov_b32 s20, 0xbf4178ce
	s_mov_b32 s12, 0xbe903f40
	v_sub_f32_e32 v14, v29, v49
	s_mov_b32 s4, 0x3f7d64f0
	v_add_f32_e32 v56, v5, v42
	s_mov_b32 s16, 0xbf7d64f0
	s_mov_b32 s21, 0xbf27a4f4
	;; [unrolled: 1-line block ×7, first 2 shown]
	v_pk_add_f32 v[58:59], v[42:43], v[36:37] neg_lo:[0,1] neg_hi:[0,1]
	s_mov_b32 s17, 0xbe11bafb
	v_pk_add_f32 v[60:61], v[56:57], v[38:39]
	s_mov_b32 s14, s21
	s_mov_b32 s15, s13
	v_pk_mul_f32 v[62:63], v[14:15], s[22:23] op_sel_hi:[0,1]
	s_mov_b32 s24, s4
	s_mov_b32 s25, s18
	v_pk_add_f32 v[54:55], v[36:37], v[42:43]
	s_mov_b32 s11, 0x3f575c64
	s_mov_b32 s10, s17
	v_mov_b32_e32 v28, v53
	v_pk_fma_f32 v[64:65], v[60:61], s[14:15], v[62:63] op_sel:[1,0,0] neg_lo:[0,0,1] neg_hi:[0,0,1]
	v_pk_mul_f32 v[66:67], v[58:59], s[24:25] op_sel:[1,0]
	v_pk_add_f32 v[64:65], v[64:65], v[28:29] op_sel_hi:[1,0]
	v_pk_fma_f32 v[68:69], v[54:55], s[10:11], v[66:67] op_sel_hi:[0,1,1] neg_lo:[0,0,1] neg_hi:[0,0,1]
	v_pk_add_f32 v[64:65], v[64:65], v[68:69]
	v_mov_b32_e32 v68, v38
	v_mov_b32_e32 v69, v48
	v_pk_add_f32 v[78:79], v[68:69], v[40:41] neg_lo:[0,1] neg_hi:[0,1]
	s_mov_b32 s34, s5
	s_mov_b32 s35, s20
	v_pk_add_f32 v[74:75], v[68:69], v[40:41]
	s_mov_b32 s26, s11
	s_mov_b32 s27, s21
	v_pk_mul_f32 v[68:69], v[78:79], s[34:35] op_sel:[1,0]
	s_mov_b32 s46, 0xbf68dda4
	s_mov_b32 s41, 0x3f68dda4
	v_pk_fma_f32 v[70:71], v[74:75], s[26:27], v[68:69] op_sel_hi:[0,1,1] neg_lo:[0,0,1] neg_hi:[0,0,1]
	s_mov_b32 s47, 0x3ed4b147
	s_mov_b32 s36, s12
	;; [unrolled: 1-line block ×3, first 2 shown]
	v_pk_add_f32 v[82:83], v[34:35], v[32:33] neg_lo:[0,1] neg_hi:[0,1]
	v_pk_add_f32 v[64:65], v[70:71], v[64:65]
	s_mov_b32 s28, s13
	s_mov_b32 s29, s47
	v_pk_add_f32 v[76:77], v[32:33], v[34:35]
	v_pk_mul_f32 v[70:71], v[82:83], s[36:37] op_sel:[1,0]
	s_mov_b32 s38, s41
	v_pk_fma_f32 v[72:73], v[76:77], s[28:29], v[70:71] op_sel_hi:[0,1,1] neg_lo:[0,0,1] neg_hi:[0,0,1]
	v_pk_add_f32 v[64:65], v[64:65], v[72:73]
	v_mov_b32_e32 v72, v52
	v_mov_b32_e32 v73, v44
	v_pk_add_f32 v[84:85], v[30:31], v[72:73] neg_lo:[0,1] neg_hi:[0,1]
	s_mov_b32 s39, s16
	v_pk_add_f32 v[80:81], v[30:31], v[72:73]
	s_mov_b32 s30, s47
	s_mov_b32 s31, s17
	v_pk_mul_f32 v[72:73], v[84:85], s[38:39] op_sel:[1,0]
	v_mad_u32_u24 v56, v4, 44, 0
	v_pk_fma_f32 v[86:87], v[80:81], s[30:31], v[72:73] op_sel_hi:[0,1,1] neg_lo:[0,0,1] neg_hi:[0,0,1]
	v_pk_add_f32 v[64:65], v[86:87], v[64:65]
	s_mov_b32 s42, s46
	s_mov_b32 s43, s16
	ds_write2_b32 v56, v65, v64 offset0:6 offset1:7
	s_mov_b32 s45, 0x3e903f40
	s_mov_b32 s44, s20
	v_pk_mul_f32 v[64:65], v[14:15], s[42:43] op_sel_hi:[0,1]
	v_pk_fma_f32 v[86:87], v[60:61], s[30:31], v[64:65] op_sel:[1,0,0] neg_lo:[0,0,1] neg_hi:[0,0,1]
	v_pk_mul_f32 v[88:89], v[58:59], s[44:45] op_sel:[1,0]
	v_pk_add_f32 v[86:87], v[86:87], v[28:29] op_sel_hi:[1,0]
	v_pk_fma_f32 v[90:91], v[54:55], s[14:15], v[88:89] op_sel_hi:[0,1,1] neg_lo:[0,0,1] neg_hi:[0,0,1]
	s_mov_b32 s40, s45
	v_pk_add_f32 v[86:87], v[86:87], v[90:91]
	v_pk_mul_f32 v[90:91], v[78:79], s[40:41] op_sel:[1,0]
	s_mov_b32 s19, s20
	v_pk_fma_f32 v[92:93], v[74:75], s[28:29], v[90:91] op_sel_hi:[0,1,1] neg_lo:[0,0,1] neg_hi:[0,0,1]
	v_pk_add_f32 v[86:87], v[92:93], v[86:87]
	v_pk_mul_f32 v[92:93], v[82:83], s[4:5] op_sel:[1,0]
	v_pk_add_f32 v[112:113], v[60:61], v[34:35]
	v_pk_fma_f32 v[94:95], v[76:77], s[10:11], v[92:93] op_sel_hi:[0,1,1] neg_lo:[0,0,1] neg_hi:[0,0,1]
	v_pk_add_f32 v[86:87], v[86:87], v[94:95]
	v_pk_mul_f32 v[94:95], v[84:85], s[18:19] op_sel:[1,0]
	v_mul_f32_e32 v117, 0xbf0a6770, v14
	v_pk_fma_f32 v[96:97], v[80:81], s[26:27], v[94:95] op_sel_hi:[0,1,1] neg_lo:[0,0,1] neg_hi:[0,0,1]
	v_pk_add_f32 v[86:87], v[96:97], v[86:87]
	ds_write2_b32 v56, v87, v86 offset0:8 offset1:9
	v_mov_b32_e32 v38, v87
	v_mov_b32_e32 v86, v59
	;; [unrolled: 1-line block ×3, first 2 shown]
	v_pk_mul_f32 v[96:97], v[86:87], s[46:47]
	v_mov_b32_e32 v116, v30
	v_mov_b32_e32 v5, v96
	v_pk_fma_f32 v[98:99], v[86:87], s[46:47], v[4:5]
	v_mov_b32_e32 v86, v79
	v_mov_b32_e32 v87, v74
	v_pk_mul_f32 v[100:101], v[86:87], s[16:17]
	v_mov_b32_e32 v98, v32
	v_mov_b32_e32 v5, v100
	v_pk_fma_f32 v[102:103], v[86:87], s[16:17], v[4:5]
	v_mov_b32_e32 v86, v83
	v_mov_b32_e32 v87, v76
	;; [unrolled: 6-line block ×4, first 2 shown]
	v_pk_mul_f32 v[114:115], v[60:61], v[86:87]
	v_mov_b32_e32 v110, v39
	v_mov_b32_e32 v113, v115
	v_pk_add_f32 v[112:113], v[112:113], v[116:117]
	v_fmac_f32_e32 v115, 0x3f0a6770, v14
	v_add_f32_e32 v5, v115, v53
	v_pk_add_f32 v[52:53], v[112:113], v[52:53]
	v_pk_fma_f32 v[64:65], v[60:61], s[30:31], v[64:65] op_sel:[1,0,0]
	v_pk_add_f32 v[52:53], v[52:53], v[98:99]
	v_pk_add_f32 v[64:65], v[64:65], v[28:29] op_sel_hi:[1,0]
	v_pk_add_f32 v[52:53], v[52:53], v[102:103]
	v_sub_f32_e32 v14, v97, v96
	v_pk_add_f32 v[52:53], v[106:107], v[52:53]
	v_sub_f32_e32 v25, v101, v100
	v_pk_add_f32 v[52:53], v[52:53], v[110:111]
	ds_write2_b32 v56, v52, v53 offset1:1
	v_pk_fma_f32 v[52:53], v[54:55], s[14:15], v[88:89] op_sel_hi:[0,1,1]
	v_pk_add_f32 v[52:53], v[64:65], v[52:53]
	v_pk_fma_f32 v[64:65], v[74:75], s[28:29], v[90:91] op_sel_hi:[0,1,1]
	v_pk_add_f32 v[52:53], v[64:65], v[52:53]
	;; [unrolled: 2-line block ×4, first 2 shown]
	ds_write2_b32 v56, v52, v53 offset0:2 offset1:3
	v_pk_fma_f32 v[52:53], v[60:61], s[14:15], v[62:63] op_sel:[1,0,0]
	v_pk_fma_f32 v[60:61], v[54:55], s[10:11], v[66:67] op_sel_hi:[0,1,1]
	v_pk_add_f32 v[52:53], v[52:53], v[28:29] op_sel_hi:[1,0]
	v_add_f32_e32 v5, v5, v14
	v_pk_add_f32 v[52:53], v[52:53], v[60:61]
	v_pk_fma_f32 v[60:61], v[74:75], s[26:27], v[68:69] op_sel_hi:[0,1,1]
	v_pk_add_f32 v[52:53], v[60:61], v[52:53]
	v_pk_fma_f32 v[60:61], v[76:77], s[28:29], v[70:71] op_sel_hi:[0,1,1]
	;; [unrolled: 2-line block ×3, first 2 shown]
	v_sub_f32_e32 v28, v105, v104
	v_add_f32_e32 v5, v25, v5
	v_pk_add_f32 v[52:53], v[60:61], v[52:53]
	v_sub_f32_e32 v30, v109, v108
	v_add_f32_e32 v5, v5, v28
	v_mov_b32_e32 v51, v16
	ds_write2_b32 v56, v52, v53 offset0:4 offset1:5
	v_add_f32_e32 v5, v30, v5
	v_mov_b32_e32 v25, v24
	v_cmp_gt_u32_e32 vcc, 63, v4
	v_pk_add_f32 v[62:63], v[26:27], v[10:11]
	v_pk_add_f32 v[72:73], v[26:27], v[10:11] neg_lo:[0,1] neg_hi:[0,1]
	v_pk_add_f32 v[64:65], v[50:51], v[12:13]
	v_pk_add_f32 v[70:71], v[50:51], v[12:13] neg_lo:[0,1] neg_hi:[0,1]
	;; [unrolled: 2-line block ×4, first 2 shown]
	ds_write_b32 v56, v5 offset:40
	s_and_saveexec_b64 s[48:49], vcc
	s_cbranch_execz .LBB0_17
; %bb.16:
	v_mov_b32_e32 v90, v73
	v_mov_b32_e32 v91, v62
	v_pk_mul_f32 v[96:97], v[90:91], s[46:47]
	v_mov_b32_e32 v98, v71
	v_mov_b32_e32 v99, v64
	;; [unrolled: 1-line block ×3, first 2 shown]
	v_pk_mul_f32 v[100:101], v[98:99], s[16:17]
	v_mov_b32_e32 v5, v96
	v_mov_b32_e32 v0, v47
	v_sub_f32_e32 v28, v101, v100
	v_pk_fma_f32 v[90:91], v[90:91], s[46:47], v[4:5]
	v_mov_b32_e32 v5, v100
	v_pk_add_f32 v[100:101], v[0:1], v[18:19]
	v_mov_b32_e32 v51, v24
	v_pk_add_f32 v[100:101], v[100:101], v[26:27]
	v_mov_b32_e32 v92, v69
	v_mov_b32_e32 v93, v52
	;; [unrolled: 1-line block ×3, first 2 shown]
	v_pk_mul_f32 v[102:103], v[92:93], s[20:21]
	v_pk_add_f32 v[50:51], v[100:101], v[50:51]
	v_mov_b32_e32 v86, v22
	v_pk_add_f32 v[88:89], v[18:19], v[16:17] neg_lo:[0,1] neg_hi:[0,1]
	v_sub_f32_e32 v14, v97, v96
	v_sub_f32_e32 v30, v103, v102
	v_pk_fma_f32 v[96:97], v[98:99], s[16:17], v[4:5]
	v_mov_b32_e32 v5, v102
	v_pk_add_f32 v[100:101], v[50:51], v[22:23]
	v_pk_mul_f32 v[102:103], v[50:51], v[86:87]
	v_mul_f32_e32 v95, 0xbf0a6770, v89
	v_mov_b32_e32 v101, v103
	v_mov_b32_e32 v94, v20
	;; [unrolled: 1-line block ×4, first 2 shown]
	v_pk_add_f32 v[94:95], v[100:101], v[94:95]
	v_pk_mul_f32 v[106:107], v[104:105], s[12:13]
	v_pk_add_f32 v[94:95], v[94:95], v[46:47]
	v_mov_b32_e32 v90, v8
	v_pk_fma_f32 v[92:93], v[92:93], s[20:21], v[4:5]
	v_mov_b32_e32 v5, v106
	v_pk_add_f32 v[90:91], v[90:91], v[94:95]
	v_mov_b32_e32 v96, v12
	v_pk_fma_f32 v[98:99], v[104:105], s[12:13], v[4:5]
	v_pk_add_f32 v[90:91], v[96:97], v[90:91]
	v_mov_b32_e32 v92, v10
	v_pk_add_f32 v[90:91], v[92:93], v[90:91]
	v_mov_b32_e32 v98, v24
	v_add_u32_e32 v0, 0x1104, v56
	v_pk_add_f32 v[90:91], v[98:99], v[90:91]
	v_pk_mul_f32 v[98:99], v[88:89], s[42:43] op_sel:[1,0]
	ds_write2_b32 v0, v90, v91 offset1:1
	v_pk_mul_f32 v[90:91], v[72:73], s[44:45] op_sel:[1,0]
	v_pk_fma_f32 v[108:109], v[50:51], s[30:31], v[98:99] op_sel:[1,0,0]
	v_fmac_f32_e32 v103, 0x3f0a6770, v89
	v_pk_mul_f32 v[92:93], v[70:71], s[40:41] op_sel:[1,0]
	v_pk_fma_f32 v[100:101], v[62:63], s[14:15], v[90:91] op_sel_hi:[0,1,1]
	v_pk_add_f32 v[108:109], v[46:47], v[108:109] op_sel:[1,0]
	v_add_f32_e32 v5, v47, v103
	v_pk_mul_f32 v[94:95], v[68:69], s[4:5] op_sel:[1,0]
	v_pk_fma_f32 v[102:103], v[64:65], s[28:29], v[92:93] op_sel_hi:[0,1,1]
	v_pk_add_f32 v[100:101], v[108:109], v[100:101]
	v_pk_mul_f32 v[96:97], v[66:67], s[18:19] op_sel:[1,0]
	v_pk_fma_f32 v[104:105], v[52:53], s[10:11], v[94:95] op_sel_hi:[0,1,1]
	v_pk_add_f32 v[100:101], v[100:101], v[102:103]
	v_sub_f32_e32 v32, v107, v106
	v_pk_fma_f32 v[106:107], v[60:61], s[26:27], v[96:97] op_sel_hi:[0,1,1]
	v_pk_add_f32 v[100:101], v[100:101], v[104:105]
	v_add_u32_e32 v0, 0x110c, v56
	v_pk_add_f32 v[100:101], v[100:101], v[106:107]
	v_pk_mul_f32 v[88:89], v[88:89], s[22:23] op_sel:[1,0]
	ds_write2_b32 v0, v100, v101 offset1:1
	v_pk_mul_f32 v[100:101], v[72:73], s[24:25] op_sel:[1,0]
	v_pk_fma_f32 v[116:117], v[50:51], s[14:15], v[88:89] op_sel:[1,0,0]
	v_pk_fma_f32 v[88:89], v[50:51], s[14:15], v[88:89] op_sel:[1,0,0] neg_lo:[0,0,1] neg_hi:[0,0,1]
	v_pk_mul_f32 v[102:103], v[70:71], s[34:35] op_sel:[1,0]
	v_pk_fma_f32 v[108:109], v[62:63], s[10:11], v[100:101] op_sel_hi:[0,1,1]
	v_pk_fma_f32 v[100:101], v[62:63], s[10:11], v[100:101] op_sel_hi:[0,1,1] neg_lo:[0,0,1] neg_hi:[0,0,1]
	v_pk_add_f32 v[88:89], v[46:47], v[88:89] op_sel:[1,0]
	v_pk_mul_f32 v[104:105], v[68:69], s[36:37] op_sel:[1,0]
	v_pk_fma_f32 v[110:111], v[64:65], s[26:27], v[102:103] op_sel_hi:[0,1,1]
	v_pk_fma_f32 v[102:103], v[64:65], s[26:27], v[102:103] op_sel_hi:[0,1,1] neg_lo:[0,0,1] neg_hi:[0,0,1]
	v_pk_add_f32 v[88:89], v[88:89], v[100:101]
	v_pk_mul_f32 v[106:107], v[66:67], s[38:39] op_sel:[1,0]
	v_pk_fma_f32 v[112:113], v[52:53], s[28:29], v[104:105] op_sel_hi:[0,1,1]
	v_pk_fma_f32 v[104:105], v[52:53], s[28:29], v[104:105] op_sel_hi:[0,1,1] neg_lo:[0,0,1] neg_hi:[0,0,1]
	v_pk_add_f32 v[88:89], v[88:89], v[102:103]
	v_pk_fma_f32 v[114:115], v[60:61], s[30:31], v[106:107] op_sel_hi:[0,1,1]
	v_pk_fma_f32 v[106:107], v[60:61], s[30:31], v[106:107] op_sel_hi:[0,1,1] neg_lo:[0,0,1] neg_hi:[0,0,1]
	v_pk_add_f32 v[88:89], v[88:89], v[104:105]
	v_add_u32_e32 v8, 0x111c, v56
	v_pk_add_f32 v[88:89], v[88:89], v[106:107]
	v_pk_fma_f32 v[50:51], v[50:51], s[30:31], v[98:99] op_sel:[1,0,0] neg_lo:[0,0,1] neg_hi:[0,0,1]
	v_pk_add_f32 v[116:117], v[46:47], v[116:117] op_sel:[1,0]
	ds_write2_b32 v8, v89, v88 offset1:1
	v_pk_fma_f32 v[88:89], v[62:63], s[14:15], v[90:91] op_sel_hi:[0,1,1] neg_lo:[0,0,1] neg_hi:[0,0,1]
	v_pk_add_f32 v[46:47], v[46:47], v[50:51] op_sel:[1,0]
	v_pk_add_f32 v[108:109], v[116:117], v[108:109]
	v_pk_fma_f32 v[90:91], v[64:65], s[28:29], v[92:93] op_sel_hi:[0,1,1] neg_lo:[0,0,1] neg_hi:[0,0,1]
	v_pk_add_f32 v[46:47], v[46:47], v[88:89]
	v_add_f32_e32 v5, v5, v14
	v_pk_add_f32 v[108:109], v[108:109], v[110:111]
	v_pk_fma_f32 v[92:93], v[52:53], s[10:11], v[94:95] op_sel_hi:[0,1,1] neg_lo:[0,0,1] neg_hi:[0,0,1]
	v_pk_add_f32 v[46:47], v[46:47], v[90:91]
	v_add_f32_e32 v5, v5, v28
	;; [unrolled: 4-line block ×3, first 2 shown]
	v_add_u32_e32 v0, 0x1114, v56
	v_pk_add_f32 v[108:109], v[108:109], v[114:115]
	v_add_u32_e32 v8, 0x1124, v56
	v_pk_add_f32 v[46:47], v[46:47], v[94:95]
	v_add_f32_e32 v14, v5, v32
	ds_write2_b32 v0, v108, v109 offset1:1
	v_mov_b32_e32 v0, v47
	v_mov_b32_e32 v5, v46
	ds_write2_b32 v8, v47, v46 offset1:1
	ds_write_b32 v56, v14 offset:4396
.LBB0_17:
	s_or_b64 exec, exec, s[48:49]
	v_add_f32_e32 v5, v45, v29
	v_add_f32_e32 v28, v5, v43
	v_mov_b32_e32 v42, v55
	v_mov_b32_e32 v43, v58
	s_mov_b32 s48, s47
	s_mov_b32 s49, s46
	v_pk_mul_f32 v[46:47], v[42:43], s[48:49]
	s_mov_b32 s46, s17
	v_mov_b32_e32 v5, v46
	v_add_f32_e32 v8, v46, v47
	v_mov_b32_e32 v46, v75
	v_mov_b32_e32 v47, v78
	s_mov_b32 s47, s16
	v_pk_mul_f32 v[50:51], v[46:47], s[46:47]
	v_pk_fma_f32 v[42:43], v[42:43], s[48:49], v[4:5] neg_lo:[1,0,0] neg_hi:[1,0,0]
	v_mov_b32_e32 v5, v50
	v_add_f32_e32 v10, v50, v51
	v_mov_b32_e32 v50, v77
	v_mov_b32_e32 v51, v82
	s_mov_b32 s16, s21
	s_mov_b32 s17, s20
	v_pk_mul_f32 v[88:89], v[50:51], s[16:17]
	v_pk_fma_f32 v[46:47], v[46:47], s[46:47], v[4:5] neg_lo:[1,0,0] neg_hi:[1,0,0]
	v_mov_b32_e32 v5, v88
	v_pk_add_f32 v[28:29], v[28:29], v[48:49]
	v_sub_f32_e32 v0, v57, v39
	v_pk_fma_f32 v[50:51], v[50:51], s[16:17], v[4:5] neg_lo:[1,0,0] neg_hi:[1,0,0]
	v_mov_b32_e32 v86, v35
	v_mul_f32_e32 v5, 0x3f575c64, v29
	v_mul_f32_e32 v39, 0xbf0a6770, v0
	v_pk_add_f32 v[34:35], v[28:29], v[86:87]
	v_fmac_f32_e32 v5, 0xbf0a6770, v0
	v_mov_b32_e32 v38, v31
	v_mov_b32_e32 v42, v33
	v_add_f32_e32 v5, v5, v45
	v_pk_add_f32 v[30:31], v[34:35], v[38:39]
	v_pk_fma_f32 v[32:33], v[28:29], v[86:87], v[38:39] neg_lo:[0,0,1] neg_hi:[0,0,1]
	v_add_f32_e32 v5, v5, v8
	v_mov_b32_e32 v31, v33
	v_mov_b32_e32 v32, v81
	;; [unrolled: 1-line block ×3, first 2 shown]
	s_mov_b32 s16, s13
	s_mov_b32 s17, s12
	v_add_f32_e32 v5, v10, v5
	v_add_f32_e32 v8, v88, v89
	v_pk_add_f32 v[30:31], v[30:31], v[44:45]
	v_pk_mul_f32 v[34:35], v[32:33], s[16:17]
	v_mov_b32_e32 v46, v41
	v_add_f32_e32 v8, v5, v8
	v_pk_add_f32 v[30:31], v[30:31], v[42:43]
	v_mov_b32_e32 v5, v34
	v_mov_b32_e32 v50, v37
	v_pk_add_f32 v[30:31], v[30:31], v[46:47]
	v_pk_fma_f32 v[32:33], v[32:33], s[16:17], v[4:5] neg_lo:[1,0,0] neg_hi:[1,0,0]
	v_pk_add_f32 v[30:31], v[50:51], v[30:31]
	v_mov_b32_e32 v32, v49
	v_pk_add_f32 v[86:87], v[30:31], v[32:33]
	v_pk_mul_f32 v[30:31], v[0:1], s[42:43] op_sel_hi:[0,1]
	v_pk_mul_f32 v[32:33], v[58:59], s[44:45] op_sel_hi:[0,1]
	v_pk_fma_f32 v[40:41], v[28:29], s[30:31], v[30:31] op_sel:[1,0,0] neg_lo:[0,0,1] neg_hi:[0,0,1]
	v_add_f32_e32 v5, v34, v35
	v_pk_fma_f32 v[34:35], v[54:55], s[14:15], v[32:33] op_sel:[1,0,0] neg_lo:[0,0,1] neg_hi:[0,0,1]
	v_pk_mul_f32 v[36:37], v[78:79], s[40:41] op_sel_hi:[0,1]
	v_pk_add_f32 v[40:41], v[40:41], v[44:45] op_sel:[0,1]
	v_pk_fma_f32 v[38:39], v[74:75], s[28:29], v[36:37] op_sel:[1,0,0] neg_lo:[0,0,1] neg_hi:[0,0,1]
	v_pk_add_f32 v[34:35], v[40:41], v[34:35]
	v_pk_fma_f32 v[30:31], v[28:29], s[30:31], v[30:31] op_sel:[1,0,0]
	v_pk_add_f32 v[34:35], v[38:39], v[34:35]
	v_pk_mul_f32 v[38:39], v[82:83], s[4:5] op_sel_hi:[0,1]
	v_pk_fma_f32 v[40:41], v[76:77], s[10:11], v[38:39] op_sel:[1,0,0] neg_lo:[0,0,1] neg_hi:[0,0,1]
	v_pk_fma_f32 v[32:33], v[54:55], s[14:15], v[32:33] op_sel:[1,0,0]
	v_pk_add_f32 v[34:35], v[34:35], v[40:41]
	v_pk_mul_f32 v[40:41], v[84:85], s[18:19] op_sel_hi:[0,1]
	v_pk_fma_f32 v[42:43], v[80:81], s[26:27], v[40:41] op_sel:[1,0,0] neg_lo:[0,0,1] neg_hi:[0,0,1]
	v_pk_add_f32 v[30:31], v[30:31], v[44:45] op_sel:[0,1]
	v_pk_add_f32 v[88:89], v[42:43], v[34:35]
	v_pk_fma_f32 v[34:35], v[74:75], s[28:29], v[36:37] op_sel:[1,0,0]
	v_pk_add_f32 v[30:31], v[30:31], v[32:33]
	v_pk_fma_f32 v[32:33], v[76:77], s[10:11], v[38:39] op_sel:[1,0,0]
	v_pk_add_f32 v[30:31], v[34:35], v[30:31]
	v_pk_mul_f32 v[36:37], v[78:79], s[34:35] op_sel_hi:[0,1]
	v_pk_add_f32 v[30:31], v[30:31], v[32:33]
	v_pk_fma_f32 v[32:33], v[80:81], s[26:27], v[40:41] op_sel:[1,0,0]
	v_pk_fma_f32 v[38:39], v[74:75], s[26:27], v[36:37] op_sel:[1,0,0] neg_lo:[0,0,1] neg_hi:[0,0,1]
	v_pk_add_f32 v[90:91], v[32:33], v[30:31]
	v_pk_mul_f32 v[30:31], v[0:1], s[22:23] op_sel_hi:[0,1]
	v_pk_mul_f32 v[32:33], v[58:59], s[24:25] op_sel_hi:[0,1]
	v_pk_fma_f32 v[40:41], v[28:29], s[14:15], v[30:31] op_sel:[1,0,0] neg_lo:[0,0,1] neg_hi:[0,0,1]
	v_pk_fma_f32 v[34:35], v[54:55], s[10:11], v[32:33] op_sel:[1,0,0] neg_lo:[0,0,1] neg_hi:[0,0,1]
	v_pk_add_f32 v[40:41], v[40:41], v[44:45] op_sel:[0,1]
	v_pk_fma_f32 v[28:29], v[28:29], s[14:15], v[30:31] op_sel:[1,0,0]
	v_pk_add_f32 v[34:35], v[40:41], v[34:35]
	v_pk_fma_f32 v[32:33], v[54:55], s[10:11], v[32:33] op_sel:[1,0,0]
	v_pk_add_f32 v[34:35], v[38:39], v[34:35]
	v_pk_mul_f32 v[38:39], v[82:83], s[36:37] op_sel_hi:[0,1]
	v_pk_fma_f32 v[40:41], v[76:77], s[28:29], v[38:39] op_sel:[1,0,0] neg_lo:[0,0,1] neg_hi:[0,0,1]
	v_pk_add_f32 v[28:29], v[28:29], v[44:45] op_sel:[0,1]
	v_pk_add_f32 v[34:35], v[34:35], v[40:41]
	v_pk_mul_f32 v[40:41], v[84:85], s[38:39] op_sel_hi:[0,1]
	v_pk_fma_f32 v[42:43], v[80:81], s[30:31], v[40:41] op_sel:[1,0,0] neg_lo:[0,0,1] neg_hi:[0,0,1]
	v_pk_add_f32 v[28:29], v[28:29], v[32:33]
	v_pk_add_f32 v[58:59], v[42:43], v[34:35]
	v_pk_fma_f32 v[34:35], v[74:75], s[26:27], v[36:37] op_sel:[1,0,0]
	s_movk_i32 s4, 0xffd8
	v_pk_add_f32 v[28:29], v[34:35], v[28:29]
	v_pk_fma_f32 v[30:31], v[76:77], s[28:29], v[38:39] op_sel:[1,0,0]
	v_mad_i32_i24 v44, v4, s4, v56
	v_add_u32_e32 v12, 0xc6, v4
	v_add_f32_e32 v92, v5, v8
	v_pk_add_f32 v[28:29], v[28:29], v[30:31]
	v_pk_fma_f32 v[30:31], v[80:81], s[30:31], v[40:41] op_sel:[1,0,0]
	v_add_u32_e32 v49, 0x800, v44
	v_add_u32_e32 v5, 0x1200, v44
	;; [unrolled: 1-line block ×3, first 2 shown]
	v_lshl_add_u32 v45, v12, 2, 0
	v_add_u32_e32 v50, 0xc00, v44
	v_add_u32_e32 v20, 0x1400, v44
	;; [unrolled: 1-line block ×6, first 2 shown]
	v_pk_add_f32 v[74:75], v[30:31], v[28:29]
	s_waitcnt lgkmcnt(0)
	s_barrier
	ds_read2_b32 v[28:29], v44 offset1:99
	ds_read2_b32 v[32:33], v49 offset0:82 offset1:181
	ds_read2_b32 v[34:35], v5 offset0:36 offset1:135
	;; [unrolled: 1-line block ×4, first 2 shown]
	v_lshl_add_u32 v46, v0, 2, 0
	v_lshl_add_u32 v47, v8, 2, 0
	ds_read2_b32 v[36:37], v22 offset0:94 offset1:193
	ds_read2_b32 v[30:31], v42 offset0:48 offset1:147
	v_lshl_add_u32 v48, v10, 2, 0
	ds_read_b32 v55, v45
	ds_read_b32 v54, v46
	;; [unrolled: 1-line block ×4, first 2 shown]
	s_movk_i32 s20, 0x18c
	s_waitcnt lgkmcnt(0)
	s_barrier
	ds_write2_b32 v56, v86, v87 offset1:1
	ds_write2_b32 v56, v88, v89 offset0:2 offset1:3
	ds_write2_b32 v56, v58, v59 offset0:4 offset1:5
	;; [unrolled: 1-line block ×3, first 2 shown]
	v_mov_b32_e32 v14, v91
	ds_write2_b32 v56, v91, v90 offset0:8 offset1:9
	ds_write_b32 v56, v92 offset:40
	s_and_saveexec_b64 s[4:5], vcc
	s_cbranch_execz .LBB0_19
; %bb.18:
	v_mov_b32_e32 v14, v1
	v_mov_b32_e32 v74, v63
	;; [unrolled: 1-line block ×3, first 2 shown]
	s_mov_b32 s11, 0xbf68dda4
	s_mov_b32 s10, 0x3ed4b147
	v_pk_add_f32 v[58:59], v[14:15], v[18:19]
	v_pk_mul_f32 v[76:77], v[74:75], s[10:11]
	v_pk_add_f32 v[26:27], v[58:59], v[26:27]
	v_mov_b32_e32 v1, v76
	v_add_f32_e32 v57, v76, v77
	v_mov_b32_e32 v76, v65
	v_mov_b32_e32 v77, v70
	s_mov_b32 s15, 0xbf7d64f0
	s_mov_b32 s14, 0xbe11bafb
	v_pk_add_f32 v[24:25], v[18:19], v[24:25] neg_lo:[0,1] neg_hi:[0,1]
	v_pk_mul_f32 v[78:79], v[76:77], s[14:15]
	v_mov_b32_e32 v18, v27
	v_pk_fma_f32 v[74:75], v[74:75], s[10:11], v[0:1] neg_lo:[1,0,0] neg_hi:[1,0,0]
	v_mov_b32_e32 v1, v78
	v_add_f32_e32 v86, v78, v79
	v_mov_b32_e32 v78, v53
	v_mov_b32_e32 v79, v68
	s_mov_b32 s19, 0xbf4178ce
	s_mov_b32 s18, 0xbf27a4f4
	v_pk_add_f32 v[18:19], v[18:19], v[16:17]
	v_mov_b32_e32 v27, 0x3f575c64
	v_mov_b32_e32 v26, v23
	v_mul_f32_e32 v59, 0xbf0a6770, v24
	v_pk_mul_f32 v[80:81], v[78:79], s[18:19]
	v_pk_add_f32 v[82:83], v[18:19], v[26:27]
	v_pk_mul_f32 v[84:85], v[18:19], v[26:27]
	v_mov_b32_e32 v58, v21
	v_pk_fma_f32 v[76:77], v[76:77], s[14:15], v[0:1] neg_lo:[1,0,0] neg_hi:[1,0,0]
	v_mov_b32_e32 v1, v80
	v_pk_add_f32 v[82:83], v[82:83], v[58:59]
	v_pk_fma_f32 v[26:27], v[18:19], v[26:27], v[58:59] neg_lo:[0,0,1] neg_hi:[0,0,1]
	v_fmac_f32_e32 v85, 0xbf0a6770, v24
	v_pk_fma_f32 v[78:79], v[78:79], s[18:19], v[0:1] neg_lo:[1,0,0] neg_hi:[1,0,0]
	v_mov_b32_e32 v83, v27
	v_add_f32_e32 v1, v15, v85
	v_pk_add_f32 v[26:27], v[82:83], v[14:15]
	v_mov_b32_e32 v74, v9
	v_add_f32_e32 v1, v1, v57
	v_mov_b32_e32 v58, v61
	v_mov_b32_e32 v59, v66
	s_mov_b32 s23, 0xbe903f40
	s_mov_b32 s22, 0xbf75a155
	v_pk_add_f32 v[26:27], v[74:75], v[26:27]
	v_add_f32_e32 v1, v1, v86
	v_add_f32_e32 v9, v80, v81
	v_pk_mul_f32 v[74:75], v[58:59], s[22:23]
	v_mov_b32_e32 v76, v13
	v_add_f32_e32 v9, v1, v9
	v_mov_b32_e32 v1, v74
	v_pk_add_f32 v[26:27], v[76:77], v[26:27]
	v_mov_b32_e32 v78, v11
	v_pk_fma_f32 v[58:59], v[58:59], s[22:23], v[0:1] neg_lo:[1,0,0] neg_hi:[1,0,0]
	v_pk_add_f32 v[26:27], v[78:79], v[26:27]
	v_mov_b32_e32 v58, v17
	s_mov_b32 s24, s11
	s_mov_b32 s25, s15
	v_pk_add_f32 v[16:17], v[58:59], v[26:27]
	v_pk_mul_f32 v[26:27], v[24:25], s[24:25] op_sel_hi:[0,1]
	s_mov_b32 s27, 0x3e903f40
	s_mov_b32 s26, s19
	;; [unrolled: 1-line block ×5, first 2 shown]
	v_pk_mul_f32 v[58:59], v[72:73], s[26:27] op_sel_hi:[0,1]
	s_mov_b32 s31, 0x3f68dda4
	s_mov_b32 s30, s27
	v_pk_fma_f32 v[80:81], v[18:19], s[10:11], v[26:27] op_sel:[1,0,0] neg_lo:[0,0,1] neg_hi:[0,0,1]
	s_mov_b32 s12, 0x3f7d64f0
	v_add_f32_e32 v1, v74, v75
	v_pk_fma_f32 v[74:75], v[62:63], s[24:25], v[58:59] op_sel:[1,0,0] neg_lo:[0,0,1] neg_hi:[0,0,1]
	s_mov_b32 s28, s22
	s_mov_b32 s29, s10
	v_pk_mul_f32 v[76:77], v[70:71], s[30:31] op_sel_hi:[0,1]
	v_pk_add_f32 v[80:81], v[14:15], v[80:81] op_sel:[1,0]
	s_mov_b32 s13, 0xbf0a6770
	v_pk_fma_f32 v[78:79], v[64:65], s[28:29], v[76:77] op_sel:[1,0,0] neg_lo:[0,0,1] neg_hi:[0,0,1]
	v_pk_add_f32 v[74:75], v[80:81], v[74:75]
	v_pk_fma_f32 v[26:27], v[18:19], s[10:11], v[26:27] op_sel:[1,0,0]
	s_mov_b32 s17, 0x3f575c64
	v_pk_add_f32 v[74:75], v[74:75], v[78:79]
	s_mov_b32 s16, s14
	v_pk_mul_f32 v[78:79], v[68:69], s[12:13] op_sel_hi:[0,1]
	v_pk_fma_f32 v[58:59], v[62:63], s[24:25], v[58:59] op_sel:[1,0,0]
	v_pk_add_f32 v[26:27], v[14:15], v[26:27] op_sel:[1,0]
	v_pk_fma_f32 v[80:81], v[52:53], s[16:17], v[78:79] op_sel:[1,0,0] neg_lo:[0,0,1] neg_hi:[0,0,1]
	s_mov_b32 s27, s18
	s_mov_b32 s18, 0x3f0a6770
	v_pk_fma_f32 v[76:77], v[64:65], s[28:29], v[76:77] op_sel:[1,0,0]
	v_pk_add_f32 v[26:27], v[26:27], v[58:59]
	v_pk_add_f32 v[74:75], v[74:75], v[80:81]
	s_mov_b32 s26, s17
	v_pk_mul_f32 v[80:81], v[66:67], s[18:19] op_sel_hi:[0,1]
	v_pk_add_f32 v[26:27], v[26:27], v[76:77]
	v_pk_fma_f32 v[58:59], v[52:53], s[16:17], v[78:79] op_sel:[1,0,0]
	s_mov_b32 s22, s19
	v_pk_add_f32 v[26:27], v[26:27], v[58:59]
	v_pk_fma_f32 v[58:59], v[60:61], s[26:27], v[80:81] op_sel:[1,0,0]
	v_pk_mul_f32 v[24:25], v[24:25], s[22:23] op_sel_hi:[0,1]
	s_mov_b32 s34, s12
	s_mov_b32 s35, s18
	v_pk_add_f32 v[26:27], v[26:27], v[58:59]
	v_pk_mul_f32 v[58:59], v[72:73], s[34:35] op_sel_hi:[0,1]
	s_mov_b32 s18, s13
	v_pk_fma_f32 v[78:79], v[18:19], s[24:25], v[24:25] op_sel:[1,0,0] neg_lo:[0,0,1] neg_hi:[0,0,1]
	v_pk_fma_f32 v[18:19], v[18:19], s[24:25], v[24:25] op_sel:[1,0,0]
	v_pk_fma_f32 v[72:73], v[62:63], s[16:17], v[58:59] op_sel:[1,0,0] neg_lo:[0,0,1] neg_hi:[0,0,1]
	v_pk_mul_f32 v[70:71], v[70:71], s[18:19] op_sel_hi:[0,1]
	v_pk_add_f32 v[78:79], v[14:15], v[78:79] op_sel:[1,0]
	s_mov_b32 s30, s23
	v_pk_fma_f32 v[58:59], v[62:63], s[16:17], v[58:59] op_sel:[1,0,0]
	v_pk_add_f32 v[14:15], v[14:15], v[18:19] op_sel:[1,0]
	v_pk_mul_f32 v[68:69], v[68:69], s[30:31] op_sel_hi:[0,1]
	s_mov_b32 s14, s31
	v_pk_fma_f32 v[62:63], v[64:65], s[26:27], v[70:71] op_sel:[1,0,0]
	v_pk_add_f32 v[14:15], v[14:15], v[58:59]
	v_pk_fma_f32 v[76:77], v[64:65], s[26:27], v[70:71] op_sel:[1,0,0] neg_lo:[0,0,1] neg_hi:[0,0,1]
	v_pk_add_f32 v[72:73], v[78:79], v[72:73]
	v_pk_mul_f32 v[66:67], v[66:67], s[14:15] op_sel_hi:[0,1]
	v_pk_add_f32 v[14:15], v[14:15], v[62:63]
	v_pk_fma_f32 v[18:19], v[52:53], s[28:29], v[68:69] op_sel:[1,0,0]
	v_add_f32_e32 v9, v9, v1
	v_pk_fma_f32 v[82:83], v[60:61], s[26:27], v[80:81] op_sel:[1,0,0] neg_lo:[0,0,1] neg_hi:[0,0,1]
	v_pk_add_f32 v[72:73], v[72:73], v[76:77]
	v_pk_fma_f32 v[76:77], v[52:53], s[28:29], v[68:69] op_sel:[1,0,0] neg_lo:[0,0,1] neg_hi:[0,0,1]
	v_pk_add_f32 v[14:15], v[14:15], v[18:19]
	v_pk_fma_f32 v[18:19], v[60:61], s[10:11], v[66:67] op_sel:[1,0,0]
	v_add_u32_e32 v1, 0x1104, v56
	v_pk_add_f32 v[74:75], v[74:75], v[82:83]
	v_pk_add_f32 v[72:73], v[72:73], v[76:77]
	v_pk_fma_f32 v[76:77], v[60:61], s[10:11], v[66:67] op_sel:[1,0,0] neg_lo:[0,0,1] neg_hi:[0,0,1]
	v_pk_add_f32 v[14:15], v[14:15], v[18:19]
	ds_write2_b32 v1, v16, v17 offset1:1
	v_add_u32_e32 v1, 0x110c, v56
	v_add_u32_e32 v11, 0x111c, v56
	v_pk_add_f32 v[72:73], v[72:73], v[76:77]
	ds_write2_b32 v1, v74, v75 offset1:1
	v_add_u32_e32 v1, 0x1114, v56
	ds_write2_b32 v11, v15, v14 offset1:1
	v_add_u32_e32 v11, 0x1124, v56
	ds_write2_b32 v1, v72, v73 offset1:1
	v_mov_b32_e32 v1, v26
	ds_write2_b32 v11, v27, v26 offset1:1
	ds_write_b32 v56, v9 offset:4396
.LBB0_19:
	s_or_b64 exec, exec, s[4:5]
	s_movk_i32 s4, 0x75
	v_mul_lo_u16_sdwa v9, v4, s4 dst_sel:DWORD dst_unused:UNUSED_PAD src0_sel:BYTE_0 src1_sel:DWORD
	v_sub_u16_sdwa v11, v4, v9 dst_sel:DWORD dst_unused:UNUSED_PAD src0_sel:DWORD src1_sel:BYTE_1
	v_add_u32_e32 v1, 0x63, v4
	v_lshrrev_b16_e32 v11, 1, v11
	s_mov_b32 s5, 0xba2f
	v_and_b32_e32 v11, 0x7f, v11
	v_mul_u32_u24_sdwa v13, v12, s5 dst_sel:DWORD dst_unused:UNUSED_PAD src0_sel:WORD_0 src1_sel:DWORD
	v_mul_u32_u24_sdwa v15, v0, s5 dst_sel:DWORD dst_unused:UNUSED_PAD src0_sel:WORD_0 src1_sel:DWORD
	v_mul_lo_u16_sdwa v19, v1, s4 dst_sel:DWORD dst_unused:UNUSED_PAD src0_sel:BYTE_0 src1_sel:DWORD
	v_add_u16_sdwa v9, v11, v9 dst_sel:DWORD dst_unused:UNUSED_PAD src0_sel:DWORD src1_sel:BYTE_1
	v_lshrrev_b32_e32 v13, 19, v13
	v_lshrrev_b32_e32 v23, 19, v15
	v_sub_u16_sdwa v52, v1, v19 dst_sel:DWORD dst_unused:UNUSED_PAD src0_sel:DWORD src1_sel:BYTE_1
	v_lshrrev_b16_e32 v9, 3, v9
	v_mul_lo_u16_e32 v14, 11, v13
	v_mul_lo_u16_e32 v18, 11, v23
	v_lshrrev_b16_e32 v52, 1, v52
	v_mul_lo_u16_e32 v11, 11, v9
	v_sub_u16_e32 v21, v12, v14
	v_sub_u16_e32 v82, v0, v18
	v_and_b32_e32 v52, 0x7f, v52
	v_lshlrev_b32_e32 v14, 4, v21
	v_lshlrev_b32_e32 v18, 4, v82
	v_sub_u16_e32 v11, v4, v11
	v_mov_b32_e32 v83, 4
	v_add_u16_sdwa v19, v52, v19 dst_sel:DWORD dst_unused:UNUSED_PAD src0_sel:DWORD src1_sel:BYTE_1
	s_waitcnt lgkmcnt(0)
	s_barrier
	global_load_dwordx4 v[14:17], v14, s[8:9]
	v_lshrrev_b16_e32 v84, 3, v19
	global_load_dwordx4 v[24:27], v18, s[8:9]
	v_lshlrev_b32_sdwa v18, v83, v11 dst_sel:DWORD dst_unused:UNUSED_PAD src0_sel:DWORD src1_sel:BYTE_0
	global_load_dwordx4 v[56:59], v18, s[8:9]
	v_mul_lo_u16_e32 v18, 11, v84
	v_sub_u16_e32 v85, v1, v18
	v_lshlrev_b32_sdwa v18, v83, v85 dst_sel:DWORD dst_unused:UNUSED_PAD src0_sel:DWORD src1_sel:BYTE_0
	global_load_dwordx4 v[60:63], v18, s[8:9]
	v_mul_u32_u24_sdwa v18, v8, s5 dst_sel:DWORD dst_unused:UNUSED_PAD src0_sel:WORD_0 src1_sel:DWORD
	v_lshrrev_b32_e32 v86, 19, v18
	v_mul_lo_u16_e32 v18, 11, v86
	v_sub_u16_e32 v87, v8, v18
	v_lshlrev_b32_e32 v18, 4, v87
	global_load_dwordx4 v[64:67], v18, s[8:9]
	v_mul_u32_u24_sdwa v18, v10, s5 dst_sel:DWORD dst_unused:UNUSED_PAD src0_sel:WORD_0 src1_sel:DWORD
	v_lshrrev_b32_e32 v88, 19, v18
	v_mul_lo_u16_e32 v18, 11, v88
	v_sub_u16_e32 v89, v10, v18
	v_lshlrev_b32_e32 v18, 4, v89
	global_load_dwordx4 v[68:71], v18, s[8:9]
	ds_read2_b32 v[18:19], v44 offset1:99
	ds_read2_b32 v[52:53], v49 offset0:82 offset1:181
	ds_read2_b32 v[72:73], v5 offset0:36 offset1:135
	;; [unrolled: 1-line block ×6, first 2 shown]
	ds_read_b32 v90, v45
	ds_read_b32 v91, v46
	;; [unrolled: 1-line block ×4, first 2 shown]
	v_mul_u32_u24_e32 v9, 0x84, v9
	s_mov_b32 s4, 0x5040100
	s_waitcnt lgkmcnt(0)
	s_barrier
	s_movk_i32 s5, 0x84
	v_perm_b32 v13, v23, v13, s4
	v_pk_mul_lo_u16 v13, v13, s5 op_sel_hi:[1,0]
	v_lshlrev_b32_e32 v21, 2, v21
	v_lshlrev_b32_e32 v23, 2, v87
	s_waitcnt vmcnt(5)
	v_mul_f32_e32 v94, v74, v15
	v_mul_f32_e32 v15, v40, v15
	;; [unrolled: 1-line block ×4, first 2 shown]
	s_waitcnt vmcnt(4)
	v_mul_f32_e32 v96, v75, v25
	v_mul_f32_e32 v25, v41, v25
	v_fmac_f32_e32 v94, v40, v14
	v_fma_f32 v14, v74, v14, -v15
	v_fmac_f32_e32 v95, v38, v16
	v_fma_f32 v15, v76, v16, -v17
	v_fma_f32 v16, v75, v24, -v25
	s_waitcnt vmcnt(3)
	v_mul_f32_e32 v17, v52, v57
	v_mul_f32_e32 v25, v72, v59
	v_fmac_f32_e32 v96, v41, v24
	v_mul_f32_e32 v24, v32, v57
	v_mul_f32_e32 v38, v34, v59
	v_fmac_f32_e32 v17, v32, v56
	v_fmac_f32_e32 v25, v34, v58
	s_waitcnt vmcnt(2)
	v_mul_f32_e32 v40, v53, v61
	v_mul_f32_e32 v41, v33, v61
	v_fma_f32 v24, v52, v56, -v24
	v_fma_f32 v32, v72, v58, -v38
	v_add_f32_e32 v52, v17, v25
	v_mul_f32_e32 v57, v73, v63
	v_fmac_f32_e32 v40, v33, v60
	v_fma_f32 v33, v53, v60, -v41
	v_add_f32_e32 v41, v28, v17
	v_fma_f32 v28, -0.5, v52, v28
	v_sub_f32_e32 v52, v24, v32
	v_mul_f32_e32 v59, v35, v63
	v_fmac_f32_e32 v57, v35, v62
	v_fmamk_f32 v53, v52, 0xbf5db3d7, v28
	v_fmac_f32_e32 v28, 0x3f5db3d7, v52
	v_add_f32_e32 v52, v18, v24
	v_add_f32_e32 v24, v24, v32
	v_fma_f32 v34, v73, v62, -v59
	v_add_f32_e32 v41, v41, v25
	v_fma_f32 v18, -0.5, v24, v18
	v_sub_f32_e32 v17, v17, v25
	v_add_f32_e32 v25, v40, v57
	v_mul_f32_e32 v97, v77, v27
	v_mul_f32_e32 v27, v39, v27
	v_fmamk_f32 v24, v17, 0x3f5db3d7, v18
	v_fmac_f32_e32 v18, 0xbf5db3d7, v17
	v_add_f32_e32 v17, v29, v40
	v_fmac_f32_e32 v29, -0.5, v25
	v_sub_f32_e32 v25, v33, v34
	v_fmac_f32_e32 v97, v39, v26
	v_fma_f32 v26, v77, v26, -v27
	s_waitcnt vmcnt(1)
	v_mul_f32_e32 v27, v78, v65
	v_add_f32_e32 v52, v52, v32
	v_fmamk_f32 v32, v25, 0xbf5db3d7, v29
	v_fmac_f32_e32 v29, 0x3f5db3d7, v25
	v_add_f32_e32 v25, v19, v33
	v_add_f32_e32 v33, v33, v34
	v_fmac_f32_e32 v27, v36, v64
	v_mul_f32_e32 v35, v36, v65
	v_mul_f32_e32 v36, v80, v67
	v_fmac_f32_e32 v19, -0.5, v33
	v_sub_f32_e32 v33, v40, v57
	v_add_f32_e32 v40, v94, v95
	v_fmac_f32_e32 v36, v30, v66
	v_mul_f32_e32 v30, v30, v67
	v_add_f32_e32 v25, v25, v34
	v_fmamk_f32 v34, v33, 0x3f5db3d7, v19
	v_fmac_f32_e32 v19, 0xbf5db3d7, v33
	v_add_f32_e32 v33, v55, v94
	v_fmac_f32_e32 v55, -0.5, v40
	v_sub_f32_e32 v40, v14, v15
	v_fma_f32 v30, v80, v66, -v30
	v_fmamk_f32 v56, v40, 0xbf5db3d7, v55
	v_fmac_f32_e32 v55, 0x3f5db3d7, v40
	v_add_f32_e32 v40, v90, v14
	v_add_f32_e32 v14, v14, v15
	v_mov_b32_e32 v80, 2
	v_add_f32_e32 v66, v40, v15
	v_fmac_f32_e32 v90, -0.5, v14
	v_sub_f32_e32 v14, v94, v95
	v_add_f32_e32 v15, v96, v97
	v_lshlrev_b32_sdwa v11, v80, v11 dst_sel:DWORD dst_unused:UNUSED_PAD src0_sel:DWORD src1_sel:BYTE_0
	s_waitcnt vmcnt(0)
	v_mul_f32_e32 v38, v79, v69
	v_fmamk_f32 v67, v14, 0x3f5db3d7, v90
	v_fmac_f32_e32 v90, 0xbf5db3d7, v14
	v_add_f32_e32 v14, v54, v96
	v_fmac_f32_e32 v54, -0.5, v15
	v_sub_f32_e32 v15, v16, v26
	v_add3_u32 v9, 0, v9, v11
	v_fmac_f32_e32 v38, v37, v68
	v_mul_f32_e32 v37, v37, v69
	v_fmamk_f32 v40, v15, 0xbf5db3d7, v54
	v_fmac_f32_e32 v54, 0x3f5db3d7, v15
	v_add_f32_e32 v15, v91, v16
	ds_write2_b32 v9, v41, v53 offset1:11
	ds_write_b32 v9, v28 offset:88
	v_mul_u32_u24_e32 v11, 0x84, v84
	v_lshlrev_b32_sdwa v28, v80, v85 dst_sel:DWORD dst_unused:UNUSED_PAD src0_sel:DWORD src1_sel:BYTE_0
	v_fma_f32 v37, v79, v68, -v37
	v_add_f32_e32 v17, v17, v57
	v_add_f32_e32 v68, v15, v26
	v_add_f32_e32 v15, v16, v26
	v_add3_u32 v11, 0, v11, v28
	v_fma_f32 v35, v78, v64, -v35
	v_fmac_f32_e32 v91, -0.5, v15
	v_sub_f32_e32 v15, v96, v97
	v_add_f32_e32 v26, v27, v36
	ds_write2_b32 v11, v17, v32 offset1:11
	ds_write_b32 v11, v29 offset:88
	v_and_b32_e32 v17, 0xfffc, v13
	v_fmamk_f32 v16, v15, 0x3f5db3d7, v91
	v_fmac_f32_e32 v91, 0xbf5db3d7, v15
	v_add_f32_e32 v15, v51, v27
	v_fmac_f32_e32 v51, -0.5, v26
	v_sub_f32_e32 v26, v35, v30
	v_add3_u32 v17, 0, v17, v21
	v_lshrrev_b32_e32 v13, 16, v13
	v_lshlrev_b32_e32 v21, 2, v82
	v_mul_f32_e32 v39, v81, v71
	v_add_f32_e32 v33, v33, v95
	v_add_f32_e32 v14, v14, v97
	v_fmamk_f32 v57, v26, 0xbf5db3d7, v51
	v_fmac_f32_e32 v51, 0x3f5db3d7, v26
	v_add_f32_e32 v26, v92, v35
	v_add3_u32 v13, 0, v13, v21
	v_fmac_f32_e32 v39, v31, v70
	v_mul_f32_e32 v31, v31, v71
	v_add_f32_e32 v26, v26, v30
	v_add_f32_e32 v30, v35, v30
	ds_write2_b32 v17, v33, v56 offset1:11
	ds_write_b32 v17, v55 offset:88
	ds_write2_b32 v13, v14, v40 offset1:11
	ds_write_b32 v13, v54 offset:88
	v_perm_b32 v14, v88, v86, s4
	v_fma_f32 v31, v81, v70, -v31
	v_fmac_f32_e32 v92, -0.5, v30
	v_sub_f32_e32 v27, v27, v36
	v_add_f32_e32 v35, v38, v39
	v_pk_mul_lo_u16 v14, v14, s5 op_sel_hi:[1,0]
	v_fmamk_f32 v30, v27, 0x3f5db3d7, v92
	v_fmac_f32_e32 v92, 0xbf5db3d7, v27
	v_add_f32_e32 v27, v43, v38
	v_fmac_f32_e32 v43, -0.5, v35
	v_sub_f32_e32 v35, v37, v31
	v_and_b32_e32 v21, 0xfffc, v14
	v_add_f32_e32 v15, v15, v36
	v_fmamk_f32 v36, v35, 0xbf5db3d7, v43
	v_fmac_f32_e32 v43, 0x3f5db3d7, v35
	v_add_f32_e32 v35, v93, v37
	v_add3_u32 v21, 0, v21, v23
	v_add_f32_e32 v35, v35, v31
	v_add_f32_e32 v31, v37, v31
	ds_write2_b32 v21, v15, v57 offset1:11
	ds_write_b32 v21, v51 offset:88
	v_lshrrev_b32_e32 v14, 16, v14
	v_lshlrev_b32_e32 v15, 2, v89
	v_add_f32_e32 v27, v27, v39
	v_fmac_f32_e32 v93, -0.5, v31
	v_sub_f32_e32 v31, v38, v39
	v_add3_u32 v23, 0, v14, v15
	s_movk_i32 s5, 0xf9
	v_fmamk_f32 v37, v31, 0x3f5db3d7, v93
	v_fmac_f32_e32 v93, 0xbf5db3d7, v31
	ds_write2_b32 v23, v27, v36 offset1:11
	ds_write_b32 v23, v43 offset:88
	s_waitcnt lgkmcnt(0)
	s_barrier
	ds_read2_b32 v[14:15], v44 offset1:99
	ds_read2_b32 v[40:41], v49 offset0:82 offset1:181
	ds_read2_b32 v[56:57], v5 offset0:36 offset1:135
	;; [unrolled: 1-line block ×6, first 2 shown]
	ds_read_b32 v43, v45
	ds_read_b32 v51, v46
	;; [unrolled: 1-line block ×4, first 2 shown]
	s_waitcnt lgkmcnt(0)
	s_barrier
	ds_write2_b32 v9, v52, v24 offset1:11
	ds_write_b32 v9, v18 offset:88
	ds_write2_b32 v11, v25, v34 offset1:11
	ds_write_b32 v11, v19 offset:88
	ds_write2_b32 v17, v66, v67 offset1:11
	ds_write_b32 v17, v90 offset:88
	ds_write2_b32 v13, v68, v16 offset1:11
	ds_write_b32 v13, v91 offset:88
	ds_write2_b32 v21, v26, v30 offset1:11
	ds_write_b32 v21, v92 offset:88
	ds_write2_b32 v23, v35, v37 offset1:11
	ds_write_b32 v23, v93 offset:88
	v_mul_lo_u16_sdwa v9, v4, s5 dst_sel:DWORD dst_unused:UNUSED_PAD src0_sel:BYTE_0 src1_sel:DWORD
	v_lshrrev_b16_e32 v9, 13, v9
	v_mul_lo_u16_e32 v11, 33, v9
	v_sub_u16_e32 v11, v4, v11
	v_lshlrev_b32_sdwa v13, v83, v11 dst_sel:DWORD dst_unused:UNUSED_PAD src0_sel:DWORD src1_sel:BYTE_0
	s_waitcnt lgkmcnt(0)
	s_barrier
	global_load_dwordx4 v[16:19], v13, s[8:9] offset:176
	v_mul_lo_u16_sdwa v13, v1, s5 dst_sel:DWORD dst_unused:UNUSED_PAD src0_sel:BYTE_0 src1_sel:DWORD
	s_mov_b32 s5, 0xf83f
	v_mul_u32_u24_sdwa v32, v0, s5 dst_sel:DWORD dst_unused:UNUSED_PAD src0_sel:WORD_0 src1_sel:DWORD
	v_lshrrev_b16_e32 v13, 13, v13
	v_lshrrev_b32_e32 v84, 21, v32
	v_mul_lo_u16_e32 v21, 33, v13
	v_mul_lo_u16_e32 v32, 33, v84
	v_sub_u16_e32 v21, v1, v21
	v_sub_u16_e32 v85, v0, v32
	v_lshlrev_b32_sdwa v23, v83, v21 dst_sel:DWORD dst_unused:UNUSED_PAD src0_sel:DWORD src1_sel:BYTE_0
	v_lshlrev_b32_e32 v32, 4, v85
	global_load_dwordx4 v[24:27], v23, s[8:9] offset:176
	v_mul_u32_u24_sdwa v36, v8, s5 dst_sel:DWORD dst_unused:UNUSED_PAD src0_sel:WORD_0 src1_sel:DWORD
	global_load_dwordx4 v[32:35], v32, s[8:9] offset:176
	v_mul_u32_u24_sdwa v23, v12, s5 dst_sel:DWORD dst_unused:UNUSED_PAD src0_sel:WORD_0 src1_sel:DWORD
	v_lshrrev_b32_e32 v23, 21, v23
	v_mul_lo_u16_e32 v28, 33, v23
	v_sub_u16_e32 v83, v12, v28
	v_lshlrev_b32_e32 v28, 4, v83
	global_load_dwordx4 v[28:31], v28, s[8:9] offset:176
	v_lshrrev_b32_e32 v86, 21, v36
	v_mul_lo_u16_e32 v36, 33, v86
	v_mul_u32_u24_sdwa v52, v10, s5 dst_sel:DWORD dst_unused:UNUSED_PAD src0_sel:WORD_0 src1_sel:DWORD
	v_sub_u16_e32 v87, v8, v36
	v_lshrrev_b32_e32 v88, 21, v52
	v_lshlrev_b32_e32 v36, 4, v87
	global_load_dwordx4 v[36:39], v36, s[8:9] offset:176
	v_mul_lo_u16_e32 v52, 33, v88
	v_sub_u16_e32 v89, v10, v52
	v_lshlrev_b32_e32 v52, 4, v89
	global_load_dwordx4 v[52:55], v52, s[8:9] offset:176
	ds_read2_b32 v[66:67], v44 offset1:99
	ds_read2_b32 v[68:69], v49 offset0:82 offset1:181
	ds_read2_b32 v[70:71], v5 offset0:36 offset1:135
	;; [unrolled: 1-line block ×6, first 2 shown]
	ds_read_b32 v90, v45
	ds_read_b32 v91, v46
	;; [unrolled: 1-line block ×4, first 2 shown]
	v_mul_u32_u24_e32 v9, 0x18c, v9
	v_lshlrev_b32_sdwa v11, v80, v11 dst_sel:DWORD dst_unused:UNUSED_PAD src0_sel:DWORD src1_sel:BYTE_0
	v_add3_u32 v9, 0, v9, v11
	v_mul_u32_u24_e32 v11, 0x18c, v13
	v_lshlrev_b32_sdwa v13, v80, v21 dst_sel:DWORD dst_unused:UNUSED_PAD src0_sel:DWORD src1_sel:BYTE_0
	v_add3_u32 v11, 0, v11, v13
	v_perm_b32 v13, v84, v23, s4
	v_pk_mul_lo_u16 v13, v13, s20 op_sel_hi:[1,0]
	s_waitcnt lgkmcnt(0)
	s_barrier
	s_waitcnt vmcnt(5)
	v_mul_f32_e32 v94, v68, v17
	v_mul_f32_e32 v17, v40, v17
	v_fmac_f32_e32 v94, v40, v16
	v_fma_f32 v16, v68, v16, -v17
	v_mul_f32_e32 v17, v70, v19
	v_mul_f32_e32 v19, v56, v19
	v_fmac_f32_e32 v17, v56, v18
	v_fma_f32 v18, v70, v18, -v19
	s_waitcnt vmcnt(4)
	v_mul_f32_e32 v19, v69, v25
	v_mul_f32_e32 v25, v41, v25
	v_fmac_f32_e32 v19, v41, v24
	v_fma_f32 v24, v69, v24, -v25
	v_mul_f32_e32 v25, v71, v27
	v_mul_f32_e32 v27, v57, v27
	v_fmac_f32_e32 v25, v57, v26
	v_fma_f32 v26, v71, v26, -v27
	;; [unrolled: 9-line block ×3, first 2 shown]
	v_mul_f32_e32 v31, v73, v33
	v_mul_f32_e32 v33, v59, v33
	v_fmac_f32_e32 v31, v59, v32
	v_fma_f32 v32, v73, v32, -v33
	v_mul_f32_e32 v33, v75, v35
	v_mul_f32_e32 v35, v61, v35
	v_fmac_f32_e32 v33, v61, v34
	v_fma_f32 v34, v75, v34, -v35
	s_waitcnt vmcnt(1)
	v_mul_f32_e32 v35, v76, v37
	v_mul_f32_e32 v37, v62, v37
	v_fmac_f32_e32 v35, v62, v36
	v_fma_f32 v36, v76, v36, -v37
	v_mul_f32_e32 v37, v78, v39
	v_mul_f32_e32 v39, v64, v39
	v_fmac_f32_e32 v37, v64, v38
	v_fma_f32 v38, v78, v38, -v39
	s_waitcnt vmcnt(0)
	v_mul_f32_e32 v39, v77, v53
	v_mul_f32_e32 v40, v63, v53
	v_fmac_f32_e32 v39, v63, v52
	v_fma_f32 v40, v77, v52, -v40
	v_mul_f32_e32 v41, v79, v55
	v_mul_f32_e32 v52, v65, v55
	v_fmac_f32_e32 v41, v65, v54
	v_fma_f32 v52, v79, v54, -v52
	v_add_f32_e32 v54, v94, v17
	v_add_f32_e32 v53, v14, v94
	v_fma_f32 v14, -0.5, v54, v14
	v_sub_f32_e32 v54, v16, v18
	v_fmamk_f32 v55, v54, 0xbf5db3d7, v14
	v_fmac_f32_e32 v14, 0x3f5db3d7, v54
	v_add_f32_e32 v54, v66, v16
	v_add_f32_e32 v16, v16, v18
	;; [unrolled: 1-line block ×4, first 2 shown]
	v_fma_f32 v16, -0.5, v16, v66
	v_sub_f32_e32 v17, v94, v17
	v_add_f32_e32 v18, v19, v25
	v_fmamk_f32 v66, v17, 0x3f5db3d7, v16
	v_fmac_f32_e32 v16, 0xbf5db3d7, v17
	v_add_f32_e32 v17, v15, v19
	v_fmac_f32_e32 v15, -0.5, v18
	v_sub_f32_e32 v18, v24, v26
	v_fmamk_f32 v56, v18, 0xbf5db3d7, v15
	v_fmac_f32_e32 v15, 0x3f5db3d7, v18
	v_add_f32_e32 v18, v67, v24
	v_add_f32_e32 v68, v18, v26
	;; [unrolled: 1-line block ×3, first 2 shown]
	v_fmac_f32_e32 v67, -0.5, v18
	v_sub_f32_e32 v18, v19, v25
	v_add_f32_e32 v19, v27, v29
	v_fmamk_f32 v24, v18, 0x3f5db3d7, v67
	v_fmac_f32_e32 v67, 0xbf5db3d7, v18
	v_add_f32_e32 v18, v43, v27
	v_fmac_f32_e32 v43, -0.5, v19
	v_sub_f32_e32 v19, v28, v30
	v_add_f32_e32 v17, v17, v25
	v_fmamk_f32 v25, v19, 0xbf5db3d7, v43
	v_fmac_f32_e32 v43, 0x3f5db3d7, v19
	v_add_f32_e32 v19, v90, v28
	v_add_f32_e32 v26, v19, v30
	;; [unrolled: 1-line block ×3, first 2 shown]
	v_fmac_f32_e32 v90, -0.5, v19
	v_sub_f32_e32 v19, v27, v29
	v_add_f32_e32 v28, v31, v33
	ds_write2_b32 v9, v53, v55 offset1:33
	ds_write_b32 v9, v14 offset:264
	ds_write2_b32 v11, v17, v56 offset1:33
	ds_write_b32 v11, v15 offset:264
	v_and_b32_e32 v14, 0xfffc, v13
	v_lshlrev_b32_e32 v15, 2, v83
	v_fmamk_f32 v27, v19, 0x3f5db3d7, v90
	v_fmac_f32_e32 v90, 0xbf5db3d7, v19
	v_add_f32_e32 v19, v51, v31
	v_fmac_f32_e32 v51, -0.5, v28
	v_sub_f32_e32 v28, v32, v34
	v_add_f32_e32 v30, v32, v34
	v_add3_u32 v14, 0, v14, v15
	v_lshrrev_b32_e32 v13, 16, v13
	v_lshlrev_b32_e32 v15, 2, v85
	v_add_f32_e32 v18, v18, v29
	v_fmamk_f32 v29, v28, 0xbf5db3d7, v51
	v_fmac_f32_e32 v51, 0x3f5db3d7, v28
	v_add_f32_e32 v28, v91, v32
	v_fmac_f32_e32 v91, -0.5, v30
	v_sub_f32_e32 v30, v31, v33
	v_add_f32_e32 v32, v35, v37
	v_add3_u32 v13, 0, v13, v15
	v_perm_b32 v15, v88, v86, s4
	v_add_f32_e32 v28, v28, v34
	v_fmamk_f32 v31, v30, 0x3f5db3d7, v91
	v_fmac_f32_e32 v91, 0xbf5db3d7, v30
	v_add_f32_e32 v30, v81, v35
	v_fmac_f32_e32 v81, -0.5, v32
	v_sub_f32_e32 v32, v36, v38
	v_add_f32_e32 v34, v36, v38
	v_pk_mul_lo_u16 v15, v15, s20 op_sel_hi:[1,0]
	v_add_f32_e32 v19, v19, v33
	v_fmamk_f32 v33, v32, 0xbf5db3d7, v81
	v_fmac_f32_e32 v81, 0x3f5db3d7, v32
	v_add_f32_e32 v32, v92, v36
	v_fmac_f32_e32 v92, -0.5, v34
	v_sub_f32_e32 v34, v35, v37
	v_add_f32_e32 v36, v39, v41
	ds_write2_b32 v14, v18, v25 offset1:33
	ds_write_b32 v14, v43 offset:264
	v_and_b32_e32 v17, 0xfffc, v15
	v_lshlrev_b32_e32 v18, 2, v87
	v_add_f32_e32 v32, v32, v38
	v_fmamk_f32 v35, v34, 0x3f5db3d7, v92
	v_fmac_f32_e32 v92, 0xbf5db3d7, v34
	v_add_f32_e32 v34, v82, v39
	v_fmac_f32_e32 v82, -0.5, v36
	v_sub_f32_e32 v36, v40, v52
	v_add_f32_e32 v38, v40, v52
	v_add3_u32 v17, 0, v17, v18
	v_lshrrev_b32_e32 v15, 16, v15
	v_lshlrev_b32_e32 v18, 2, v89
	v_add_f32_e32 v30, v30, v37
	v_add_f32_e32 v34, v34, v41
	v_fmamk_f32 v37, v36, 0xbf5db3d7, v82
	v_fmac_f32_e32 v82, 0x3f5db3d7, v36
	v_add_f32_e32 v36, v93, v40
	v_fmac_f32_e32 v93, -0.5, v38
	v_sub_f32_e32 v38, v39, v41
	v_add3_u32 v15, 0, v15, v18
	s_mov_b32 s4, 0xa57f
	v_add_f32_e32 v36, v36, v52
	v_fmamk_f32 v39, v38, 0x3f5db3d7, v93
	v_fmac_f32_e32 v93, 0xbf5db3d7, v38
	ds_write2_b32 v13, v19, v29 offset1:33
	ds_write_b32 v13, v51 offset:264
	ds_write2_b32 v17, v30, v33 offset1:33
	ds_write_b32 v17, v81 offset:264
	;; [unrolled: 2-line block ×3, first 2 shown]
	s_waitcnt lgkmcnt(0)
	s_barrier
	ds_read2_b32 v[18:19], v44 offset1:99
	ds_read2_b32 v[40:41], v49 offset0:82 offset1:181
	ds_read2_b32 v[56:57], v5 offset0:36 offset1:135
	;; [unrolled: 1-line block ×6, first 2 shown]
	ds_read_b32 v21, v45
	ds_read_b32 v23, v46
	;; [unrolled: 1-line block ×4, first 2 shown]
	s_waitcnt lgkmcnt(0)
	s_barrier
	ds_write2_b32 v9, v54, v66 offset1:33
	ds_write_b32 v9, v16 offset:264
	ds_write2_b32 v11, v68, v24 offset1:33
	ds_write_b32 v11, v67 offset:264
	;; [unrolled: 2-line block ×6, first 2 shown]
	v_mul_u32_u24_sdwa v9, v12, s4 dst_sel:DWORD dst_unused:UNUSED_PAD src0_sel:WORD_0 src1_sel:DWORD
	v_lshrrev_b32_e32 v9, 22, v9
	v_mul_lo_u16_e32 v9, 0x63, v9
	v_lshlrev_b32_e32 v14, 1, v4
	v_mov_b32_e32 v15, 0
	v_sub_u16_e32 v9, v12, v9
	v_lshl_add_u64 v[16:17], v[14:15], 3, s[8:9]
	v_lshlrev_b32_e32 v11, 4, v9
	s_waitcnt lgkmcnt(0)
	s_barrier
	global_load_dwordx4 v[24:27], v[16:17], off offset:704
	global_load_dwordx4 v[28:31], v11, s[8:9] offset:704
	v_mul_u32_u24_sdwa v11, v0, s4 dst_sel:DWORD dst_unused:UNUSED_PAD src0_sel:WORD_0 src1_sel:DWORD
	v_lshrrev_b32_e32 v11, 22, v11
	v_mul_lo_u16_e32 v11, 0x63, v11
	v_sub_u16_e32 v11, v0, v11
	v_lshlrev_b32_e32 v13, 4, v11
	global_load_dwordx4 v[32:35], v13, s[8:9] offset:704
	v_mul_u32_u24_sdwa v13, v8, s4 dst_sel:DWORD dst_unused:UNUSED_PAD src0_sel:WORD_0 src1_sel:DWORD
	v_lshrrev_b32_e32 v13, 22, v13
	v_mul_lo_u16_e32 v13, 0x63, v13
	v_sub_u16_e32 v13, v8, v13
	v_lshlrev_b32_e32 v14, 4, v13
	;; [unrolled: 6-line block ×3, first 2 shown]
	global_load_dwordx4 v[52:55], v52, s[8:9] offset:704
	ds_read2_b32 v[66:67], v44 offset1:99
	ds_read2_b32 v[68:69], v49 offset0:82 offset1:181
	ds_read2_b32 v[70:71], v5 offset0:36 offset1:135
	;; [unrolled: 1-line block ×6, first 2 shown]
	ds_read_b32 v80, v45
	ds_read_b32 v81, v46
	;; [unrolled: 1-line block ×4, first 2 shown]
	s_waitcnt lgkmcnt(0)
	s_barrier
	v_lshl_add_u32 v9, v9, 2, 0
	v_lshl_add_u32 v11, v11, 2, 0
	;; [unrolled: 1-line block ×4, first 2 shown]
	s_movk_i32 s4, 0x1000
	s_waitcnt vmcnt(4)
	v_mul_f32_e32 v84, v68, v25
	v_fmac_f32_e32 v84, v40, v24
	v_mul_f32_e32 v40, v40, v25
	v_fma_f32 v40, v68, v24, -v40
	v_mul_f32_e32 v68, v70, v27
	v_fmac_f32_e32 v68, v56, v26
	v_mul_f32_e32 v56, v56, v27
	v_fma_f32 v56, v70, v26, -v56
	v_mul_f32_e32 v70, v69, v25
	v_mul_f32_e32 v25, v41, v25
	v_fmac_f32_e32 v70, v41, v24
	v_fma_f32 v24, v69, v24, -v25
	v_mul_f32_e32 v25, v71, v27
	v_mul_f32_e32 v27, v57, v27
	v_fmac_f32_e32 v25, v57, v26
	v_fma_f32 v26, v71, v26, -v27
	s_waitcnt vmcnt(3)
	v_mul_f32_e32 v27, v72, v29
	v_mul_f32_e32 v29, v58, v29
	v_fmac_f32_e32 v27, v58, v28
	v_fma_f32 v28, v72, v28, -v29
	v_mul_f32_e32 v29, v74, v31
	v_mul_f32_e32 v31, v60, v31
	v_fmac_f32_e32 v29, v60, v30
	v_fma_f32 v30, v74, v30, -v31
	s_waitcnt vmcnt(2)
	;; [unrolled: 9-line block ×4, first 2 shown]
	v_mul_f32_e32 v39, v77, v53
	v_mul_f32_e32 v41, v63, v53
	v_fmac_f32_e32 v39, v63, v52
	v_fma_f32 v41, v77, v52, -v41
	v_mul_f32_e32 v52, v79, v55
	v_mul_f32_e32 v53, v65, v55
	v_add_f32_e32 v55, v84, v68
	v_fmac_f32_e32 v52, v65, v54
	v_fma_f32 v53, v79, v54, -v53
	v_add_f32_e32 v54, v18, v84
	v_fma_f32 v18, -0.5, v55, v18
	v_sub_f32_e32 v55, v40, v56
	v_fmamk_f32 v57, v55, 0xbf5db3d7, v18
	v_fmac_f32_e32 v18, 0x3f5db3d7, v55
	v_add_f32_e32 v55, v66, v40
	v_add_f32_e32 v40, v40, v56
	;; [unrolled: 1-line block ×3, first 2 shown]
	v_fma_f32 v56, -0.5, v40, v66
	v_sub_f32_e32 v40, v84, v68
	v_add_f32_e32 v55, v70, v25
	v_fmamk_f32 v59, v40, 0x3f5db3d7, v56
	v_fmac_f32_e32 v56, 0xbf5db3d7, v40
	v_add_f32_e32 v40, v19, v70
	v_fmac_f32_e32 v19, -0.5, v55
	v_sub_f32_e32 v55, v24, v26
	v_fmamk_f32 v60, v55, 0xbf5db3d7, v19
	v_fmac_f32_e32 v19, 0x3f5db3d7, v55
	v_add_f32_e32 v55, v67, v24
	v_add_f32_e32 v24, v24, v26
	;; [unrolled: 1-line block ×3, first 2 shown]
	v_fmac_f32_e32 v67, -0.5, v24
	v_sub_f32_e32 v24, v70, v25
	v_add_f32_e32 v26, v27, v29
	v_add_f32_e32 v40, v40, v25
	v_fmamk_f32 v25, v24, 0x3f5db3d7, v67
	v_fmac_f32_e32 v67, 0xbf5db3d7, v24
	v_add_f32_e32 v24, v21, v27
	v_fmac_f32_e32 v21, -0.5, v26
	v_sub_f32_e32 v26, v28, v30
	v_fmamk_f32 v55, v26, 0xbf5db3d7, v21
	v_fmac_f32_e32 v21, 0x3f5db3d7, v26
	v_add_f32_e32 v26, v80, v28
	v_add_f32_e32 v28, v28, v30
	;; [unrolled: 1-line block ×3, first 2 shown]
	v_fmac_f32_e32 v80, -0.5, v28
	v_sub_f32_e32 v27, v27, v29
	v_add_f32_e32 v29, v31, v33
	v_fmamk_f32 v28, v27, 0x3f5db3d7, v80
	v_fmac_f32_e32 v80, 0xbf5db3d7, v27
	v_add_f32_e32 v27, v23, v31
	v_fmac_f32_e32 v23, -0.5, v29
	v_sub_f32_e32 v29, v32, v34
	v_add_f32_e32 v26, v26, v30
	v_fmamk_f32 v30, v29, 0xbf5db3d7, v23
	v_fmac_f32_e32 v23, 0x3f5db3d7, v29
	v_add_f32_e32 v29, v81, v32
	v_add_f32_e32 v32, v32, v34
	v_fmac_f32_e32 v81, -0.5, v32
	v_sub_f32_e32 v31, v31, v33
	v_add_f32_e32 v32, v35, v37
	v_fmamk_f32 v62, v31, 0x3f5db3d7, v81
	v_fmac_f32_e32 v81, 0xbf5db3d7, v31
	v_add_f32_e32 v31, v43, v35
	v_fmac_f32_e32 v43, -0.5, v32
	v_sub_f32_e32 v32, v36, v38
	v_add_f32_e32 v27, v27, v33
	v_fmamk_f32 v33, v32, 0xbf5db3d7, v43
	v_fmac_f32_e32 v43, 0x3f5db3d7, v32
	v_add_f32_e32 v32, v82, v36
	v_add_f32_e32 v63, v32, v38
	v_add_f32_e32 v32, v36, v38
	v_add_f32_e32 v29, v29, v34
	v_fmac_f32_e32 v82, -0.5, v32
	v_sub_f32_e32 v32, v35, v37
	v_add_f32_e32 v34, v39, v52
	v_add_f32_e32 v54, v54, v68
	v_fmamk_f32 v64, v32, 0x3f5db3d7, v82
	v_fmac_f32_e32 v82, 0xbf5db3d7, v32
	v_add_f32_e32 v32, v51, v39
	v_fmac_f32_e32 v51, -0.5, v34
	v_sub_f32_e32 v34, v41, v53
	v_fmamk_f32 v35, v34, 0xbf5db3d7, v51
	v_fmac_f32_e32 v51, 0x3f5db3d7, v34
	v_add_f32_e32 v34, v83, v41
	ds_write2_b32 v44, v54, v57 offset1:99
	v_add_u32_e32 v57, 0x200, v44
	v_add_u32_e32 v68, 0x400, v44
	v_add_f32_e32 v65, v34, v53
	v_add_f32_e32 v34, v41, v53
	ds_write2_b32 v57, v18, v40 offset0:70 offset1:169
	ds_write2_b32 v68, v60, v19 offset0:140 offset1:239
	v_add_u32_e32 v18, 0x800, v9
	v_add_u32_e32 v19, 0xc00, v11
	v_add_f32_e32 v31, v31, v37
	v_add_f32_e32 v32, v32, v52
	v_fmac_f32_e32 v83, -0.5, v34
	v_sub_f32_e32 v34, v39, v52
	ds_write2_b32 v18, v24, v55 offset0:82 offset1:181
	ds_write_b32 v9, v21 offset:3168
	ds_write2_b32 v19, v27, v30 offset0:123 offset1:222
	ds_write_b32 v11, v23 offset:4356
	v_add_u32_e32 v21, 0x1200, v13
	v_add_u32_e32 v23, 0x1600, v14
	v_fmamk_f32 v66, v34, 0x3f5db3d7, v83
	v_fmac_f32_e32 v83, 0xbf5db3d7, v34
	ds_write2_b32 v21, v31, v33 offset0:36 offset1:135
	ds_write_b32 v13, v43 offset:5544
	ds_write2_b32 v23, v32, v35 offset0:77 offset1:176
	ds_write_b32 v14, v51 offset:6732
	s_waitcnt lgkmcnt(0)
	s_barrier
	ds_read2_b32 v[32:33], v44 offset1:99
	ds_read2_b32 v[34:35], v49 offset0:82 offset1:181
	ds_read2_b32 v[36:37], v5 offset0:36 offset1:135
	;; [unrolled: 1-line block ×6, first 2 shown]
	ds_read_b32 v51, v45
	ds_read_b32 v69, v46
	;; [unrolled: 1-line block ×4, first 2 shown]
	s_waitcnt lgkmcnt(0)
	s_barrier
	ds_write2_b32 v44, v58, v59 offset1:99
	ds_write2_b32 v57, v56, v61 offset0:70 offset1:169
	ds_write2_b32 v68, v25, v67 offset0:140 offset1:239
	;; [unrolled: 1-line block ×3, first 2 shown]
	ds_write_b32 v9, v80 offset:3168
	ds_write2_b32 v19, v29, v62 offset0:123 offset1:222
	ds_write_b32 v11, v81 offset:4356
	ds_write2_b32 v21, v63, v64 offset0:36 offset1:135
	;; [unrolled: 2-line block ×3, first 2 shown]
	ds_write_b32 v14, v83 offset:6732
	s_waitcnt lgkmcnt(0)
	s_barrier
	global_load_dwordx4 v[16:19], v[16:17], off offset:2288
	v_lshlrev_b32_e32 v14, 1, v1
	v_lshl_add_u64 v[24:25], v[14:15], 3, s[8:9]
	global_load_dwordx4 v[24:27], v[24:25], off offset:2288
	v_lshlrev_b32_e32 v14, 1, v12
	v_lshl_add_u64 v[28:29], v[14:15], 3, s[8:9]
	global_load_dwordx4 v[28:31], v[28:29], off offset:2288
	ds_read2_b32 v[56:57], v44 offset1:99
	ds_read2_b32 v[58:59], v49 offset0:82 offset1:181
	ds_read2_b32 v[60:61], v5 offset0:36 offset1:135
	;; [unrolled: 1-line block ×6, first 2 shown]
	ds_read_b32 v11, v45
	ds_read_b32 v14, v46
	;; [unrolled: 1-line block ×4, first 2 shown]
	s_waitcnt lgkmcnt(0)
	s_barrier
	s_waitcnt vmcnt(2)
	v_mul_f32_e32 v21, v36, v19
	v_mul_f32_e32 v1, v58, v17
	;; [unrolled: 1-line block ×4, first 2 shown]
	v_fma_f32 v21, v60, v18, -v21
	v_mul_f32_e32 v60, v63, v17
	v_mul_f32_e32 v17, v39, v17
	v_fmac_f32_e32 v1, v34, v16
	v_fma_f32 v9, v58, v16, -v9
	s_waitcnt vmcnt(1)
	v_mul_f32_e32 v34, v59, v25
	v_fmac_f32_e32 v60, v39, v16
	v_fma_f32 v16, v63, v16, -v17
	v_mul_f32_e32 v17, v65, v19
	v_mul_f32_e32 v19, v41, v19
	v_fmac_f32_e32 v13, v36, v18
	v_fmac_f32_e32 v34, v35, v24
	v_mul_f32_e32 v35, v35, v25
	v_mul_f32_e32 v36, v61, v27
	v_fmac_f32_e32 v17, v41, v18
	v_fma_f32 v18, v65, v18, -v19
	v_mul_f32_e32 v19, v22, v25
	v_mul_f32_e32 v25, v52, v25
	v_fma_f32 v35, v59, v24, -v35
	v_fmac_f32_e32 v36, v37, v26
	v_mul_f32_e32 v37, v37, v27
	s_waitcnt vmcnt(0)
	v_mul_f32_e32 v58, v62, v29
	v_fmac_f32_e32 v19, v52, v24
	v_fma_f32 v22, v22, v24, -v25
	v_mul_f32_e32 v24, v42, v27
	v_mul_f32_e32 v25, v54, v27
	v_fma_f32 v37, v61, v26, -v37
	v_fmac_f32_e32 v58, v38, v28
	v_mul_f32_e32 v38, v38, v29
	v_mul_f32_e32 v59, v64, v31
	v_fmac_f32_e32 v24, v54, v26
	v_fma_f32 v25, v42, v26, -v25
	v_mul_f32_e32 v26, v23, v29
	v_mul_f32_e32 v27, v53, v29
	v_fma_f32 v38, v62, v28, -v38
	v_fmac_f32_e32 v59, v40, v30
	v_mul_f32_e32 v40, v40, v31
	v_fmac_f32_e32 v26, v53, v28
	v_fma_f32 v23, v23, v28, -v27
	v_mul_f32_e32 v27, v43, v31
	v_mul_f32_e32 v28, v55, v31
	v_fma_f32 v40, v64, v30, -v40
	v_fmac_f32_e32 v27, v55, v30
	v_fma_f32 v28, v43, v30, -v28
	v_add_f32_e32 v30, v1, v13
	v_fma_f32 v30, -0.5, v30, v32
	v_sub_f32_e32 v31, v9, v21
	v_add_f32_e32 v29, v32, v1
	v_fmamk_f32 v32, v31, 0xbf5db3d7, v30
	v_fmac_f32_e32 v30, 0x3f5db3d7, v31
	v_add_f32_e32 v31, v56, v9
	v_add_f32_e32 v9, v9, v21
	v_fma_f32 v52, -0.5, v9, v56
	v_sub_f32_e32 v1, v1, v13
	v_add_f32_e32 v9, v34, v36
	v_fmamk_f32 v53, v1, 0x3f5db3d7, v52
	v_fmac_f32_e32 v52, 0xbf5db3d7, v1
	v_add_f32_e32 v1, v33, v34
	v_fmac_f32_e32 v33, -0.5, v9
	v_sub_f32_e32 v9, v35, v37
	v_add_f32_e32 v29, v29, v13
	v_fmamk_f32 v13, v9, 0xbf5db3d7, v33
	v_fmac_f32_e32 v33, 0x3f5db3d7, v9
	v_add_f32_e32 v9, v57, v35
	v_add_f32_e32 v54, v9, v37
	;; [unrolled: 1-line block ×4, first 2 shown]
	v_fmac_f32_e32 v57, -0.5, v9
	v_sub_f32_e32 v9, v34, v36
	v_add_f32_e32 v21, v58, v59
	v_fmamk_f32 v34, v9, 0x3f5db3d7, v57
	v_fmac_f32_e32 v57, 0xbf5db3d7, v9
	v_add_f32_e32 v9, v51, v58
	v_fmac_f32_e32 v51, -0.5, v21
	v_sub_f32_e32 v21, v38, v40
	v_fmamk_f32 v31, v21, 0xbf5db3d7, v51
	v_fmac_f32_e32 v51, 0x3f5db3d7, v21
	v_add_f32_e32 v21, v11, v38
	v_add_f32_e32 v35, v21, v40
	v_add_f32_e32 v21, v38, v40
	v_fmac_f32_e32 v11, -0.5, v21
	v_sub_f32_e32 v21, v58, v59
	v_add_f32_e32 v37, v60, v17
	v_add_f32_e32 v1, v1, v36
	v_fmamk_f32 v36, v21, 0x3f5db3d7, v11
	v_fmac_f32_e32 v11, 0xbf5db3d7, v21
	v_add_f32_e32 v21, v69, v60
	v_fmac_f32_e32 v69, -0.5, v37
	v_sub_f32_e32 v37, v16, v18
	v_fmamk_f32 v38, v37, 0xbf5db3d7, v69
	v_fmac_f32_e32 v69, 0x3f5db3d7, v37
	v_add_f32_e32 v37, v14, v16
	v_add_f32_e32 v16, v16, v18
	;; [unrolled: 1-line block ×3, first 2 shown]
	v_fmac_f32_e32 v14, -0.5, v16
	v_sub_f32_e32 v16, v60, v17
	v_add_f32_e32 v17, v19, v24
	v_fmamk_f32 v55, v16, 0x3f5db3d7, v14
	v_fmac_f32_e32 v14, 0xbf5db3d7, v16
	v_add_f32_e32 v16, v70, v19
	v_fmac_f32_e32 v70, -0.5, v17
	v_sub_f32_e32 v17, v22, v25
	v_add_f32_e32 v37, v37, v18
	v_fmamk_f32 v18, v17, 0xbf5db3d7, v70
	v_fmac_f32_e32 v70, 0x3f5db3d7, v17
	v_add_f32_e32 v17, v66, v22
	v_add_f32_e32 v56, v17, v25
	;; [unrolled: 1-line block ×3, first 2 shown]
	v_fmac_f32_e32 v66, -0.5, v17
	v_sub_f32_e32 v17, v19, v24
	v_add_f32_e32 v22, v26, v27
	v_fmamk_f32 v19, v17, 0x3f5db3d7, v66
	v_fmac_f32_e32 v66, 0xbf5db3d7, v17
	v_add_f32_e32 v17, v71, v26
	v_fmac_f32_e32 v71, -0.5, v22
	v_sub_f32_e32 v22, v23, v28
	v_add_f32_e32 v16, v16, v24
	v_fmamk_f32 v24, v22, 0xbf5db3d7, v71
	v_fmac_f32_e32 v71, 0x3f5db3d7, v22
	v_add_f32_e32 v22, v67, v23
	v_add_f32_e32 v58, v22, v28
	;; [unrolled: 1-line block ×4, first 2 shown]
	v_fmac_f32_e32 v67, -0.5, v22
	v_sub_f32_e32 v22, v26, v27
	ds_write2_b32 v44, v29, v1 offset1:99
	ds_write2_b32 v68, v32, v13 offset0:41 offset1:140
	ds_write2_b32 v49, v30, v33 offset0:82 offset1:181
	ds_write_b32 v45, v9
	ds_write_b32 v45, v31 offset:1188
	ds_write_b32 v45, v51 offset:2376
	ds_write2_b32 v50, v21, v16 offset0:123 offset1:222
	ds_write2_b32 v5, v38, v18 offset0:36 offset1:135
	v_add_u32_e32 v1, 0x1600, v44
	v_add_u32_e32 v13, 0x1000, v44
	v_add_f32_e32 v17, v17, v27
	v_fmamk_f32 v23, v22, 0x3f5db3d7, v67
	v_fmac_f32_e32 v67, 0xbf5db3d7, v22
	ds_write2_b32 v1, v69, v70 offset0:77 offset1:176
	ds_write_b32 v45, v17 offset:3564
	ds_write_b32 v45, v24 offset:4752
	;; [unrolled: 1-line block ×3, first 2 shown]
	s_waitcnt lgkmcnt(0)
	s_barrier
	ds_read2_b32 v[40:41], v44 offset1:99
	ds_read2_b32 v[42:43], v50 offset0:123 offset1:222
	ds_read2_b32 v[30:31], v13 offset0:65 offset1:164
	;; [unrolled: 1-line block ×3, first 2 shown]
	ds_read_b32 v32, v46
	ds_read_b32 v28, v47
	ds_read_b32 v26, v48
	ds_read_b32 v22, v44 offset:2376
	ds_read2_b32 v[20:21], v1 offset0:77 offset1:176
	v_lshl_add_u32 v9, v4, 2, 0
	v_add_u32_e32 v9, 0xa00, v9
	ds_read2_b32 v[16:17], v9 offset0:53 offset1:152
	ds_read_b32 v38, v45
	ds_read_b32 v18, v44 offset:6732
	s_waitcnt lgkmcnt(0)
	s_barrier
	ds_write2_b32 v44, v39, v54 offset1:99
	ds_write2_b32 v68, v53, v34 offset0:41 offset1:140
	ds_write2_b32 v49, v52, v57 offset0:82 offset1:181
	ds_write_b32 v45, v35
	ds_write_b32 v45, v36 offset:1188
	ds_write_b32 v45, v11 offset:2376
	ds_write2_b32 v50, v37, v56 offset0:123 offset1:222
	ds_write2_b32 v5, v55, v19 offset0:36 offset1:135
	;; [unrolled: 1-line block ×3, first 2 shown]
	ds_write_b32 v45, v58 offset:3564
	ds_write_b32 v45, v23 offset:4752
	;; [unrolled: 1-line block ×3, first 2 shown]
	s_waitcnt lgkmcnt(0)
	s_barrier
	s_and_saveexec_b64 s[10:11], s[0:1]
	s_cbranch_execz .LBB0_21
; %bb.20:
	v_mov_b32_e32 v5, v15
	v_lshl_add_u64 v[34:35], v[4:5], 3, s[8:9]
	v_add_co_u32_e32 v34, vcc, s4, v34
	v_mul_lo_u32 v5, s3, v6
	s_nop 0
	v_addc_co_u32_e32 v35, vcc, 0, v35, vcc
	global_load_dwordx2 v[50:51], v[34:35], off offset:2944
	global_load_dwordx2 v[56:57], v[34:35], off offset:3736
	v_mul_lo_u32 v19, s2, v7
	v_mad_u64_u32 v[58:59], s[0:1], s2, v6, 0
	ds_read2_b32 v[6:7], v9 offset0:53 offset1:152
	ds_read2_b32 v[36:37], v1 offset0:77 offset1:176
	ds_read_b32 v27, v48
	ds_read_b32 v29, v47
	;; [unrolled: 1-line block ×4, first 2 shown]
	ds_read_b32 v34, v44 offset:6732
	ds_read_b32 v23, v44 offset:2376
	ds_read2_b32 v[46:47], v13 offset0:65 offset1:164
	v_mov_b32_e32 v13, v15
	v_lshl_add_u64 v[12:13], v[12:13], 3, s[8:9]
	v_add_co_u32_e32 v12, vcc, s4, v12
	v_mov_b32_e32 v1, v15
	s_nop 0
	v_addc_co_u32_e32 v13, vcc, 0, v13, vcc
	global_load_dwordx2 v[60:61], v[12:13], off offset:2944
	v_lshl_add_u64 v[0:1], v[0:1], 3, s[8:9]
	v_add_co_u32_e32 v0, vcc, s4, v0
	v_add_u32_e32 v45, 0xc00, v44
	s_nop 0
	v_addc_co_u32_e32 v1, vcc, 0, v1, vcc
	global_load_dwordx2 v[66:67], v[0:1], off offset:2944
	s_mov_b32 s1, 0x931b4b91
	ds_read2_b32 v[64:65], v45 offset0:123 offset1:222
	v_add3_u32 v59, v59, v19, v5
	v_mul_hi_u32 v5, v4, s1
	v_add_u32_e32 v14, 0x318, v4
	v_add_u32_e32 v35, 0x1400, v44
	ds_read2_b32 v[48:49], v44 offset1:99
	v_mov_b32_e32 v44, v40
	v_add_u32_e32 v40, 0x63, v4
	v_lshrrev_b32_e32 v5, 9, v5
	v_mov_b32_e32 v9, v15
	v_lshl_add_u64 v[12:13], v[14:15], 3, s[8:9]
	v_mul_hi_u32 v14, v40, s1
	v_lshl_add_u64 v[58:59], v[58:59], 3, s[6:7]
	v_mul_u32_u24_e32 v5, 0x37b, v5
	v_lshl_add_u64 v[8:9], v[8:9], 3, s[8:9]
	v_lshrrev_b32_e32 v19, 9, v14
	v_lshl_add_u64 v[0:1], v[2:3], 3, v[58:59]
	v_sub_u32_e32 v3, v4, v5
	v_add_co_u32_e32 v8, vcc, s4, v8
	v_mul_u32_u24_e32 v2, 0x37b, v19
	v_lshlrev_b32_e32 v14, 3, v3
	v_addc_co_u32_e32 v9, vcc, 0, v9, vcc
	v_sub_u32_e32 v5, v40, v2
	v_lshl_add_u64 v[2:3], v[0:1], 0, v[14:15]
	s_waitcnt lgkmcnt(0)
	v_mov_b32_e32 v45, v48
	v_add_co_u32_e32 v58, vcc, s4, v2
	v_mov_b32_e32 v11, v15
	s_nop 0
	v_addc_co_u32_e32 v59, vcc, 0, v3, vcc
	v_lshl_add_u64 v[62:63], v[10:11], 3, s[8:9]
	ds_read2_b32 v[10:11], v35 offset0:7 offset1:106
	s_movk_i32 s0, 0x6f6
	v_mad_u32_u24 v14, v19, s0, v5
	v_lshl_add_u64 v[68:69], v[14:15], 3, v[0:1]
	v_add_u32_e32 v14, 0x37b, v14
	v_mov_b32_e32 v40, v65
	v_mov_b32_e32 v48, v41
	v_add_u32_e32 v54, 0x252, v4
	v_mov_b32_e32 v55, v15
	v_lshl_add_u64 v[54:55], v[54:55], 3, s[8:9]
	v_add_u32_e32 v5, 0xc6, v4
	v_add_u32_e32 v52, 0x2b5, v4
	v_mov_b32_e32 v53, v15
	v_lshl_add_u64 v[52:53], v[52:53], 3, s[8:9]
	s_waitcnt vmcnt(3)
	v_pk_mul_f32 v[70:71], v[50:51], v[64:65] op_sel_hi:[1,0]
	s_nop 0
	v_pk_fma_f32 v[72:73], v[42:43], v[50:51], v[70:71] op_sel:[0,0,1] op_sel_hi:[1,1,0]
	v_pk_fma_f32 v[50:51], v[42:43], v[50:51], v[70:71] op_sel:[0,0,1] op_sel_hi:[0,1,0] neg_lo:[1,0,0] neg_hi:[1,0,0]
	v_mov_b32_e32 v73, v51
	v_pk_add_f32 v[50:51], v[44:45], v[72:73] neg_lo:[0,1] neg_hi:[0,1]
	s_nop 0
	v_pk_fma_f32 v[44:45], v[44:45], 2.0, v[50:51] op_sel_hi:[1,0,1] neg_lo:[0,0,1] neg_hi:[0,0,1]
	global_store_dwordx2 v[58:59], v[50:51], off offset:3032
	global_store_dwordx2 v[2:3], v[44:45], off
	global_load_dwordx2 v[2:3], v[8:9], off offset:2944
	v_lshl_add_u64 v[8:9], v[14:15], 3, v[0:1]
	v_mov_b32_e32 v14, v43
	s_waitcnt vmcnt(5)
	v_pk_mul_f32 v[44:45], v[56:57], v[40:41] op_sel_hi:[1,0]
	s_nop 0
	v_pk_fma_f32 v[50:51], v[14:15], v[56:57], v[44:45] op_sel:[0,0,1] op_sel_hi:[1,1,0]
	v_pk_fma_f32 v[42:43], v[14:15], v[56:57], v[44:45] op_sel:[0,0,1] op_sel_hi:[0,1,0] neg_lo:[1,0,0] neg_hi:[1,0,0]
	v_mov_b32_e32 v51, v43
	v_pk_add_f32 v[40:41], v[48:49], v[50:51] neg_lo:[0,1] neg_hi:[0,1]
	s_waitcnt vmcnt(4)
	v_pk_mul_f32 v[44:45], v[60:61], v[46:47] op_sel_hi:[1,0]
	v_pk_fma_f32 v[42:43], v[48:49], 2.0, v[40:41] op_sel_hi:[1,0,1] neg_lo:[0,0,1] neg_hi:[0,0,1]
	global_store_dwordx2 v[68:69], v[42:43], off
	global_store_dwordx2 v[8:9], v[40:41], off
	v_add_co_u32_e32 v8, vcc, s4, v62
	v_pk_fma_f32 v[48:49], v[30:31], v[60:61], v[44:45] op_sel:[0,0,1] op_sel_hi:[1,1,0]
	s_nop 0
	v_addc_co_u32_e32 v9, vcc, 0, v63, vcc
	global_load_dwordx2 v[8:9], v[8:9], off offset:2944
	v_pk_fma_f32 v[44:45], v[30:31], v[60:61], v[44:45] op_sel:[0,0,1] op_sel_hi:[0,1,0] neg_lo:[1,0,0] neg_hi:[1,0,0]
	v_mov_b32_e32 v49, v45
	v_pk_add_f32 v[44:45], v[38:39], v[48:49] neg_lo:[0,1] neg_hi:[0,1]
	v_add_co_u32_e32 v48, vcc, s4, v54
	v_mul_hi_u32 v14, v5, s1
	s_nop 0
	v_addc_co_u32_e32 v49, vcc, 0, v55, vcc
	global_load_dwordx2 v[48:49], v[48:49], off offset:2944
	v_lshrrev_b32_e32 v14, 9, v14
	v_mul_u32_u24_e32 v19, 0x37b, v14
	v_sub_u32_e32 v5, v5, v19
	v_mad_u32_u24 v14, v14, s0, v5
	v_lshl_add_u64 v[40:41], v[14:15], 3, v[0:1]
	v_add_u32_e32 v14, 0x37b, v14
	v_add_u32_e32 v5, 0x129, v4
	v_lshl_add_u64 v[42:43], v[14:15], 3, v[0:1]
	v_pk_fma_f32 v[38:39], v[38:39], 2.0, v[44:45] op_sel_hi:[1,0,1] neg_lo:[0,0,1] neg_hi:[0,0,1]
	v_mul_hi_u32 v14, v5, s1
	global_store_dwordx2 v[40:41], v[38:39], off
	global_store_dwordx2 v[42:43], v[44:45], off
	v_lshrrev_b32_e32 v14, 9, v14
	v_add_co_u32_e32 v42, vcc, s4, v52
	v_mul_u32_u24_e32 v19, 0x37b, v14
	s_nop 0
	v_addc_co_u32_e32 v43, vcc, 0, v53, vcc
	v_sub_u32_e32 v5, v5, v19
	global_load_dwordx2 v[42:43], v[42:43], off offset:2944
	v_mad_u32_u24 v14, v14, s0, v5
	v_lshl_add_u64 v[38:39], v[14:15], 3, v[0:1]
	v_add_u32_e32 v14, 0x37b, v14
	v_mov_b32_e32 v30, v47
	v_lshl_add_u64 v[40:41], v[14:15], 3, v[0:1]
	v_mov_b32_e32 v14, v31
	s_waitcnt vmcnt(10)
	v_pk_mul_f32 v[44:45], v[66:67], v[30:31] op_sel_hi:[1,0]
	v_add_co_u32_e32 v12, vcc, s4, v12
	v_pk_fma_f32 v[46:47], v[14:15], v[66:67], v[44:45] op_sel:[0,0,1] op_sel_hi:[1,1,0]
	v_pk_fma_f32 v[30:31], v[14:15], v[66:67], v[44:45] op_sel:[0,0,1] op_sel_hi:[0,1,0] neg_lo:[1,0,0] neg_hi:[1,0,0]
	v_mov_b32_e32 v47, v31
	v_pk_add_f32 v[30:31], v[32:33], v[46:47] neg_lo:[0,1] neg_hi:[0,1]
	v_addc_co_u32_e32 v13, vcc, 0, v13, vcc
	v_pk_fma_f32 v[32:33], v[32:33], 2.0, v[30:31] op_sel_hi:[1,0,1] neg_lo:[0,0,1] neg_hi:[0,0,1]
	global_store_dwordx2 v[38:39], v[32:33], off
	global_store_dwordx2 v[40:41], v[30:31], off
	global_load_dwordx2 v[12:13], v[12:13], off offset:2944
	v_add_u32_e32 v5, 0x18c, v4
	v_mul_hi_u32 v14, v5, s1
	v_lshrrev_b32_e32 v14, 9, v14
	v_mul_u32_u24_e32 v19, 0x37b, v14
	v_sub_u32_e32 v5, v5, v19
	v_mad_u32_u24 v14, v14, s0, v5
	v_lshl_add_u64 v[30:31], v[14:15], 3, v[0:1]
	v_add_u32_e32 v14, 0x37b, v14
	v_lshl_add_u64 v[32:33], v[14:15], 3, v[0:1]
	s_waitcnt vmcnt(10) lgkmcnt(0)
	v_pk_mul_f32 v[38:39], v[2:3], v[10:11] op_sel_hi:[1,0]
	s_nop 0
	v_pk_fma_f32 v[40:41], v[24:25], v[2:3], v[38:39] op_sel:[0,0,1] op_sel_hi:[1,1,0]
	v_pk_fma_f32 v[2:3], v[24:25], v[2:3], v[38:39] op_sel:[0,0,1] op_sel_hi:[0,1,0] neg_lo:[1,0,0] neg_hi:[1,0,0]
	v_mov_b32_e32 v41, v3
	v_pk_add_f32 v[2:3], v[28:29], v[40:41] neg_lo:[0,1] neg_hi:[0,1]
	v_mov_b32_e32 v10, v25
	v_pk_fma_f32 v[28:29], v[28:29], 2.0, v[2:3] op_sel_hi:[1,0,1] neg_lo:[0,0,1] neg_hi:[0,0,1]
	global_store_dwordx2 v[30:31], v[28:29], off
	global_store_dwordx2 v[32:33], v[2:3], off
	v_add_u32_e32 v2, 0x1ef, v4
	v_mul_hi_u32 v3, v2, s1
	v_lshrrev_b32_e32 v3, 9, v3
	v_mul_u32_u24_e32 v5, 0x37b, v3
	v_sub_u32_e32 v2, v2, v5
	v_mad_u32_u24 v14, v3, s0, v2
	v_lshl_add_u64 v[2:3], v[14:15], 3, v[0:1]
	v_add_u32_e32 v14, 0x37b, v14
	v_lshl_add_u64 v[28:29], v[14:15], 3, v[0:1]
	v_mov_b32_e32 v14, v11
	s_waitcnt vmcnt(9)
	v_pk_mul_f32 v[30:31], v[8:9], v[14:15] op_sel_hi:[1,0]
	v_mov_b32_e32 v14, v25
	v_pk_fma_f32 v[10:11], v[10:11], v[8:9], v[30:31] op_sel:[0,0,1] op_sel_hi:[1,1,0]
	v_pk_fma_f32 v[8:9], v[14:15], v[8:9], v[30:31] op_sel:[0,0,1] op_sel_hi:[0,1,0] neg_lo:[1,0,0] neg_hi:[1,0,0]
	v_mov_b32_e32 v11, v9
	v_pk_add_f32 v[8:9], v[26:27], v[10:11] neg_lo:[0,1] neg_hi:[0,1]
	s_nop 0
	v_pk_fma_f32 v[10:11], v[26:27], 2.0, v[8:9] op_sel_hi:[1,0,1] neg_lo:[0,0,1] neg_hi:[0,0,1]
	global_store_dwordx2 v[2:3], v[10:11], off
	global_store_dwordx2 v[28:29], v[8:9], off
	v_add_u32_e32 v2, 0x252, v4
	v_mul_hi_u32 v3, v2, s1
	v_lshrrev_b32_e32 v3, 9, v3
	s_waitcnt vmcnt(10)
	v_pk_mul_f32 v[10:11], v[48:49], v[36:37] op_sel_hi:[1,0]
	v_mul_u32_u24_e32 v5, 0x37b, v3
	v_pk_fma_f32 v[24:25], v[20:21], v[48:49], v[10:11] op_sel:[0,0,1] op_sel_hi:[1,1,0]
	v_pk_fma_f32 v[10:11], v[20:21], v[48:49], v[10:11] op_sel:[0,0,1] op_sel_hi:[0,1,0] neg_lo:[1,0,0] neg_hi:[1,0,0]
	v_sub_u32_e32 v2, v2, v5
	v_mov_b32_e32 v25, v11
	v_mad_u32_u24 v14, v3, s0, v2
	v_pk_add_f32 v[10:11], v[22:23], v[24:25] neg_lo:[0,1] neg_hi:[0,1]
	v_lshl_add_u64 v[2:3], v[14:15], 3, v[0:1]
	v_add_u32_e32 v14, 0x37b, v14
	v_pk_fma_f32 v[22:23], v[22:23], 2.0, v[10:11] op_sel_hi:[1,0,1] neg_lo:[0,0,1] neg_hi:[0,0,1]
	v_lshl_add_u64 v[8:9], v[14:15], 3, v[0:1]
	global_store_dwordx2 v[2:3], v[22:23], off
	global_store_dwordx2 v[8:9], v[10:11], off
	v_add_u32_e32 v2, 0x2b5, v4
	v_mul_hi_u32 v3, v2, s1
	v_lshrrev_b32_e32 v3, 9, v3
	v_mul_u32_u24_e32 v5, 0x37b, v3
	v_sub_u32_e32 v2, v2, v5
	v_mad_u32_u24 v14, v3, s0, v2
	v_lshl_add_u64 v[2:3], v[14:15], 3, v[0:1]
	v_add_u32_e32 v14, 0x37b, v14
	v_lshl_add_u64 v[8:9], v[14:15], 3, v[0:1]
	v_mov_b32_e32 v14, v37
	v_mov_b32_e32 v10, v21
	s_waitcnt vmcnt(9)
	v_pk_mul_f32 v[22:23], v[42:43], v[14:15] op_sel_hi:[1,0]
	v_mov_b32_e32 v14, v21
	v_pk_fma_f32 v[10:11], v[10:11], v[42:43], v[22:23] op_sel:[0,0,1] op_sel_hi:[1,1,0]
	v_pk_fma_f32 v[20:21], v[14:15], v[42:43], v[22:23] op_sel:[0,0,1] op_sel_hi:[0,1,0] neg_lo:[1,0,0] neg_hi:[1,0,0]
	v_mov_b32_e32 v11, v21
	v_mov_b32_e32 v20, v16
	v_mov_b32_e32 v21, v6
	v_pk_add_f32 v[10:11], v[20:21], v[10:11] neg_lo:[0,1] neg_hi:[0,1]
	v_mov_b32_e32 v6, v17
	v_pk_fma_f32 v[20:21], v[20:21], 2.0, v[10:11] op_sel_hi:[1,0,1] neg_lo:[0,0,1] neg_hi:[0,0,1]
	global_store_dwordx2 v[2:3], v[20:21], off
	global_store_dwordx2 v[8:9], v[10:11], off
	v_add_u32_e32 v2, 0x318, v4
	v_mul_hi_u32 v3, v2, s1
	v_lshrrev_b32_e32 v3, 9, v3
	v_mul_u32_u24_e32 v4, 0x37b, v3
	v_sub_u32_e32 v2, v2, v4
	s_waitcnt vmcnt(8)
	v_pk_mul_f32 v[4:5], v[12:13], v[34:35] op_sel_hi:[1,0]
	v_mad_u32_u24 v14, v3, s0, v2
	v_pk_fma_f32 v[8:9], v[18:19], v[12:13], v[4:5] op_sel:[0,0,1] op_sel_hi:[1,1,0]
	v_pk_fma_f32 v[4:5], v[18:19], v[12:13], v[4:5] op_sel:[0,0,1] op_sel_hi:[0,1,0] neg_lo:[1,0,0] neg_hi:[1,0,0]
	v_mov_b32_e32 v9, v5
	v_pk_add_f32 v[4:5], v[6:7], v[8:9] neg_lo:[0,1] neg_hi:[0,1]
	v_lshl_add_u64 v[2:3], v[14:15], 3, v[0:1]
	v_add_u32_e32 v14, 0x37b, v14
	v_pk_fma_f32 v[6:7], v[6:7], 2.0, v[4:5] op_sel_hi:[1,0,1] neg_lo:[0,0,1] neg_hi:[0,0,1]
	v_lshl_add_u64 v[0:1], v[14:15], 3, v[0:1]
	global_store_dwordx2 v[2:3], v[6:7], off
	global_store_dwordx2 v[0:1], v[4:5], off
.LBB0_21:
	s_endpgm
	.section	.rodata,"a",@progbits
	.p2align	6, 0x0
	.amdhsa_kernel fft_rtc_back_len1782_factors_11_3_3_3_3_2_wgs_99_tpt_99_halfLds_sp_op_CI_CI_unitstride_sbrr_dirReg
		.amdhsa_group_segment_fixed_size 0
		.amdhsa_private_segment_fixed_size 0
		.amdhsa_kernarg_size 104
		.amdhsa_user_sgpr_count 2
		.amdhsa_user_sgpr_dispatch_ptr 0
		.amdhsa_user_sgpr_queue_ptr 0
		.amdhsa_user_sgpr_kernarg_segment_ptr 1
		.amdhsa_user_sgpr_dispatch_id 0
		.amdhsa_user_sgpr_kernarg_preload_length 0
		.amdhsa_user_sgpr_kernarg_preload_offset 0
		.amdhsa_user_sgpr_private_segment_size 0
		.amdhsa_uses_dynamic_stack 0
		.amdhsa_enable_private_segment 0
		.amdhsa_system_sgpr_workgroup_id_x 1
		.amdhsa_system_sgpr_workgroup_id_y 0
		.amdhsa_system_sgpr_workgroup_id_z 0
		.amdhsa_system_sgpr_workgroup_info 0
		.amdhsa_system_vgpr_workitem_id 0
		.amdhsa_next_free_vgpr 118
		.amdhsa_next_free_sgpr 50
		.amdhsa_accum_offset 120
		.amdhsa_reserve_vcc 1
		.amdhsa_float_round_mode_32 0
		.amdhsa_float_round_mode_16_64 0
		.amdhsa_float_denorm_mode_32 3
		.amdhsa_float_denorm_mode_16_64 3
		.amdhsa_dx10_clamp 1
		.amdhsa_ieee_mode 1
		.amdhsa_fp16_overflow 0
		.amdhsa_tg_split 0
		.amdhsa_exception_fp_ieee_invalid_op 0
		.amdhsa_exception_fp_denorm_src 0
		.amdhsa_exception_fp_ieee_div_zero 0
		.amdhsa_exception_fp_ieee_overflow 0
		.amdhsa_exception_fp_ieee_underflow 0
		.amdhsa_exception_fp_ieee_inexact 0
		.amdhsa_exception_int_div_zero 0
	.end_amdhsa_kernel
	.text
.Lfunc_end0:
	.size	fft_rtc_back_len1782_factors_11_3_3_3_3_2_wgs_99_tpt_99_halfLds_sp_op_CI_CI_unitstride_sbrr_dirReg, .Lfunc_end0-fft_rtc_back_len1782_factors_11_3_3_3_3_2_wgs_99_tpt_99_halfLds_sp_op_CI_CI_unitstride_sbrr_dirReg
                                        ; -- End function
	.section	.AMDGPU.csdata,"",@progbits
; Kernel info:
; codeLenInByte = 12872
; NumSgprs: 56
; NumVgprs: 118
; NumAgprs: 0
; TotalNumVgprs: 118
; ScratchSize: 0
; MemoryBound: 0
; FloatMode: 240
; IeeeMode: 1
; LDSByteSize: 0 bytes/workgroup (compile time only)
; SGPRBlocks: 6
; VGPRBlocks: 14
; NumSGPRsForWavesPerEU: 56
; NumVGPRsForWavesPerEU: 118
; AccumOffset: 120
; Occupancy: 4
; WaveLimiterHint : 1
; COMPUTE_PGM_RSRC2:SCRATCH_EN: 0
; COMPUTE_PGM_RSRC2:USER_SGPR: 2
; COMPUTE_PGM_RSRC2:TRAP_HANDLER: 0
; COMPUTE_PGM_RSRC2:TGID_X_EN: 1
; COMPUTE_PGM_RSRC2:TGID_Y_EN: 0
; COMPUTE_PGM_RSRC2:TGID_Z_EN: 0
; COMPUTE_PGM_RSRC2:TIDIG_COMP_CNT: 0
; COMPUTE_PGM_RSRC3_GFX90A:ACCUM_OFFSET: 29
; COMPUTE_PGM_RSRC3_GFX90A:TG_SPLIT: 0
	.text
	.p2alignl 6, 3212836864
	.fill 256, 4, 3212836864
	.type	__hip_cuid_596c912ba1cb7f75,@object ; @__hip_cuid_596c912ba1cb7f75
	.section	.bss,"aw",@nobits
	.globl	__hip_cuid_596c912ba1cb7f75
__hip_cuid_596c912ba1cb7f75:
	.byte	0                               ; 0x0
	.size	__hip_cuid_596c912ba1cb7f75, 1

	.ident	"AMD clang version 19.0.0git (https://github.com/RadeonOpenCompute/llvm-project roc-6.4.0 25133 c7fe45cf4b819c5991fe208aaa96edf142730f1d)"
	.section	".note.GNU-stack","",@progbits
	.addrsig
	.addrsig_sym __hip_cuid_596c912ba1cb7f75
	.amdgpu_metadata
---
amdhsa.kernels:
  - .agpr_count:     0
    .args:
      - .actual_access:  read_only
        .address_space:  global
        .offset:         0
        .size:           8
        .value_kind:     global_buffer
      - .offset:         8
        .size:           8
        .value_kind:     by_value
      - .actual_access:  read_only
        .address_space:  global
        .offset:         16
        .size:           8
        .value_kind:     global_buffer
      - .actual_access:  read_only
        .address_space:  global
        .offset:         24
        .size:           8
        .value_kind:     global_buffer
      - .actual_access:  read_only
        .address_space:  global
        .offset:         32
        .size:           8
        .value_kind:     global_buffer
      - .offset:         40
        .size:           8
        .value_kind:     by_value
      - .actual_access:  read_only
        .address_space:  global
        .offset:         48
        .size:           8
        .value_kind:     global_buffer
      - .actual_access:  read_only
        .address_space:  global
        .offset:         56
        .size:           8
        .value_kind:     global_buffer
      - .offset:         64
        .size:           4
        .value_kind:     by_value
      - .actual_access:  read_only
        .address_space:  global
        .offset:         72
        .size:           8
        .value_kind:     global_buffer
      - .actual_access:  read_only
        .address_space:  global
        .offset:         80
        .size:           8
        .value_kind:     global_buffer
      - .actual_access:  read_only
        .address_space:  global
        .offset:         88
        .size:           8
        .value_kind:     global_buffer
      - .actual_access:  write_only
        .address_space:  global
        .offset:         96
        .size:           8
        .value_kind:     global_buffer
    .group_segment_fixed_size: 0
    .kernarg_segment_align: 8
    .kernarg_segment_size: 104
    .language:       OpenCL C
    .language_version:
      - 2
      - 0
    .max_flat_workgroup_size: 99
    .name:           fft_rtc_back_len1782_factors_11_3_3_3_3_2_wgs_99_tpt_99_halfLds_sp_op_CI_CI_unitstride_sbrr_dirReg
    .private_segment_fixed_size: 0
    .sgpr_count:     56
    .sgpr_spill_count: 0
    .symbol:         fft_rtc_back_len1782_factors_11_3_3_3_3_2_wgs_99_tpt_99_halfLds_sp_op_CI_CI_unitstride_sbrr_dirReg.kd
    .uniform_work_group_size: 1
    .uses_dynamic_stack: false
    .vgpr_count:     118
    .vgpr_spill_count: 0
    .wavefront_size: 64
amdhsa.target:   amdgcn-amd-amdhsa--gfx950
amdhsa.version:
  - 1
  - 2
...

	.end_amdgpu_metadata
